;; amdgpu-corpus repo=ROCm/rocFFT kind=compiled arch=gfx906 opt=O3
	.text
	.amdgcn_target "amdgcn-amd-amdhsa--gfx906"
	.amdhsa_code_object_version 6
	.protected	fft_rtc_back_len1960_factors_4_7_2_7_5_wgs_56_tpt_56_halfLds_sp_op_CI_CI_sbrr_dirReg ; -- Begin function fft_rtc_back_len1960_factors_4_7_2_7_5_wgs_56_tpt_56_halfLds_sp_op_CI_CI_sbrr_dirReg
	.globl	fft_rtc_back_len1960_factors_4_7_2_7_5_wgs_56_tpt_56_halfLds_sp_op_CI_CI_sbrr_dirReg
	.p2align	8
	.type	fft_rtc_back_len1960_factors_4_7_2_7_5_wgs_56_tpt_56_halfLds_sp_op_CI_CI_sbrr_dirReg,@function
fft_rtc_back_len1960_factors_4_7_2_7_5_wgs_56_tpt_56_halfLds_sp_op_CI_CI_sbrr_dirReg: ; @fft_rtc_back_len1960_factors_4_7_2_7_5_wgs_56_tpt_56_halfLds_sp_op_CI_CI_sbrr_dirReg
; %bb.0:
	s_load_dwordx4 s[16:19], s[4:5], 0x18
	s_load_dwordx4 s[12:15], s[4:5], 0x0
	;; [unrolled: 1-line block ×3, first 2 shown]
	v_mul_u32_u24_e32 v1, 0x493, v0
	v_add_u32_sdwa v3, s6, v1 dst_sel:DWORD dst_unused:UNUSED_PAD src0_sel:DWORD src1_sel:WORD_1
	s_waitcnt lgkmcnt(0)
	s_load_dwordx2 s[2:3], s[16:17], 0x0
	s_load_dwordx2 s[20:21], s[18:19], 0x0
	v_cmp_lt_u64_e64 s[0:1], s[14:15], 2
	v_mov_b32_e32 v1, 0
	v_mov_b32_e32 v60, 0
	;; [unrolled: 1-line block ×3, first 2 shown]
	s_and_b64 vcc, exec, s[0:1]
	v_mov_b32_e32 v61, 0
	s_cbranch_vccnz .LBB0_8
; %bb.1:
	s_load_dwordx2 s[0:1], s[4:5], 0x10
	s_add_u32 s6, s18, 8
	s_addc_u32 s7, s19, 0
	s_add_u32 s22, s16, 8
	s_addc_u32 s23, s17, 0
	v_mov_b32_e32 v60, 0
	s_waitcnt lgkmcnt(0)
	s_add_u32 s24, s0, 8
	v_mov_b32_e32 v61, 0
	v_mov_b32_e32 v8, v60
	s_addc_u32 s25, s1, 0
	s_mov_b64 s[26:27], 1
	v_mov_b32_e32 v9, v61
.LBB0_2:                                ; =>This Inner Loop Header: Depth=1
	s_load_dwordx2 s[28:29], s[24:25], 0x0
                                        ; implicit-def: $vgpr10_vgpr11
	s_waitcnt lgkmcnt(0)
	v_or_b32_e32 v2, s29, v4
	v_cmp_ne_u64_e32 vcc, 0, v[1:2]
	s_and_saveexec_b64 s[0:1], vcc
	s_xor_b64 s[30:31], exec, s[0:1]
	s_cbranch_execz .LBB0_4
; %bb.3:                                ;   in Loop: Header=BB0_2 Depth=1
	v_cvt_f32_u32_e32 v2, s28
	v_cvt_f32_u32_e32 v5, s29
	s_sub_u32 s0, 0, s28
	s_subb_u32 s1, 0, s29
	v_mac_f32_e32 v2, 0x4f800000, v5
	v_rcp_f32_e32 v2, v2
	v_mul_f32_e32 v2, 0x5f7ffffc, v2
	v_mul_f32_e32 v5, 0x2f800000, v2
	v_trunc_f32_e32 v5, v5
	v_mac_f32_e32 v2, 0xcf800000, v5
	v_cvt_u32_f32_e32 v5, v5
	v_cvt_u32_f32_e32 v2, v2
	v_mul_lo_u32 v6, s0, v5
	v_mul_hi_u32 v7, s0, v2
	v_mul_lo_u32 v11, s1, v2
	v_mul_lo_u32 v10, s0, v2
	v_add_u32_e32 v6, v7, v6
	v_add_u32_e32 v6, v6, v11
	v_mul_hi_u32 v7, v2, v10
	v_mul_lo_u32 v11, v2, v6
	v_mul_hi_u32 v13, v2, v6
	v_mul_hi_u32 v12, v5, v10
	v_mul_lo_u32 v10, v5, v10
	v_mul_hi_u32 v14, v5, v6
	v_add_co_u32_e32 v7, vcc, v7, v11
	v_addc_co_u32_e32 v11, vcc, 0, v13, vcc
	v_mul_lo_u32 v6, v5, v6
	v_add_co_u32_e32 v7, vcc, v7, v10
	v_addc_co_u32_e32 v7, vcc, v11, v12, vcc
	v_addc_co_u32_e32 v10, vcc, 0, v14, vcc
	v_add_co_u32_e32 v6, vcc, v7, v6
	v_addc_co_u32_e32 v7, vcc, 0, v10, vcc
	v_add_co_u32_e32 v2, vcc, v2, v6
	v_addc_co_u32_e32 v5, vcc, v5, v7, vcc
	v_mul_lo_u32 v6, s0, v5
	v_mul_hi_u32 v7, s0, v2
	v_mul_lo_u32 v10, s1, v2
	v_mul_lo_u32 v11, s0, v2
	v_add_u32_e32 v6, v7, v6
	v_add_u32_e32 v6, v6, v10
	v_mul_lo_u32 v12, v2, v6
	v_mul_hi_u32 v13, v2, v11
	v_mul_hi_u32 v14, v2, v6
	;; [unrolled: 1-line block ×3, first 2 shown]
	v_mul_lo_u32 v11, v5, v11
	v_mul_hi_u32 v7, v5, v6
	v_add_co_u32_e32 v12, vcc, v13, v12
	v_addc_co_u32_e32 v13, vcc, 0, v14, vcc
	v_mul_lo_u32 v6, v5, v6
	v_add_co_u32_e32 v11, vcc, v12, v11
	v_addc_co_u32_e32 v10, vcc, v13, v10, vcc
	v_addc_co_u32_e32 v7, vcc, 0, v7, vcc
	v_add_co_u32_e32 v6, vcc, v10, v6
	v_addc_co_u32_e32 v7, vcc, 0, v7, vcc
	v_add_co_u32_e32 v2, vcc, v2, v6
	v_addc_co_u32_e32 v7, vcc, v5, v7, vcc
	v_mad_u64_u32 v[5:6], s[0:1], v3, v7, 0
	v_mul_hi_u32 v10, v3, v2
	v_add_co_u32_e32 v12, vcc, v10, v5
	v_addc_co_u32_e32 v13, vcc, 0, v6, vcc
	v_mad_u64_u32 v[5:6], s[0:1], v4, v2, 0
	v_mad_u64_u32 v[10:11], s[0:1], v4, v7, 0
	v_add_co_u32_e32 v2, vcc, v12, v5
	v_addc_co_u32_e32 v2, vcc, v13, v6, vcc
	v_addc_co_u32_e32 v5, vcc, 0, v11, vcc
	v_add_co_u32_e32 v2, vcc, v2, v10
	v_addc_co_u32_e32 v7, vcc, 0, v5, vcc
	v_mul_lo_u32 v10, s29, v2
	v_mul_lo_u32 v11, s28, v7
	v_mad_u64_u32 v[5:6], s[0:1], s28, v2, 0
	v_add3_u32 v6, v6, v11, v10
	v_sub_u32_e32 v10, v4, v6
	v_mov_b32_e32 v11, s29
	v_sub_co_u32_e32 v5, vcc, v3, v5
	v_subb_co_u32_e64 v10, s[0:1], v10, v11, vcc
	v_subrev_co_u32_e64 v11, s[0:1], s28, v5
	v_subbrev_co_u32_e64 v10, s[0:1], 0, v10, s[0:1]
	v_cmp_le_u32_e64 s[0:1], s29, v10
	v_cndmask_b32_e64 v12, 0, -1, s[0:1]
	v_cmp_le_u32_e64 s[0:1], s28, v11
	v_cndmask_b32_e64 v11, 0, -1, s[0:1]
	v_cmp_eq_u32_e64 s[0:1], s29, v10
	v_cndmask_b32_e64 v10, v12, v11, s[0:1]
	v_add_co_u32_e64 v12, s[0:1], 2, v2
	v_addc_co_u32_e64 v11, s[0:1], 0, v7, s[0:1]
	v_add_co_u32_e64 v13, s[0:1], 1, v2
	v_addc_co_u32_e64 v14, s[0:1], 0, v7, s[0:1]
	v_subb_co_u32_e32 v6, vcc, v4, v6, vcc
	v_cmp_ne_u32_e64 s[0:1], 0, v10
	v_cmp_le_u32_e32 vcc, s29, v6
	v_cndmask_b32_e64 v10, v14, v11, s[0:1]
	v_cndmask_b32_e64 v11, 0, -1, vcc
	v_cmp_le_u32_e32 vcc, s28, v5
	v_cndmask_b32_e64 v5, 0, -1, vcc
	v_cmp_eq_u32_e32 vcc, s29, v6
	v_cndmask_b32_e32 v5, v11, v5, vcc
	v_cmp_ne_u32_e32 vcc, 0, v5
	v_cndmask_b32_e64 v5, v13, v12, s[0:1]
	v_cndmask_b32_e32 v11, v7, v10, vcc
	v_cndmask_b32_e32 v10, v2, v5, vcc
.LBB0_4:                                ;   in Loop: Header=BB0_2 Depth=1
	s_andn2_saveexec_b64 s[0:1], s[30:31]
	s_cbranch_execz .LBB0_6
; %bb.5:                                ;   in Loop: Header=BB0_2 Depth=1
	v_cvt_f32_u32_e32 v2, s28
	s_sub_i32 s30, 0, s28
	v_mov_b32_e32 v11, v1
	v_rcp_iflag_f32_e32 v2, v2
	v_mul_f32_e32 v2, 0x4f7ffffe, v2
	v_cvt_u32_f32_e32 v2, v2
	v_mul_lo_u32 v5, s30, v2
	v_mul_hi_u32 v5, v2, v5
	v_add_u32_e32 v2, v2, v5
	v_mul_hi_u32 v2, v3, v2
	v_mul_lo_u32 v5, v2, s28
	v_add_u32_e32 v6, 1, v2
	v_sub_u32_e32 v5, v3, v5
	v_subrev_u32_e32 v7, s28, v5
	v_cmp_le_u32_e32 vcc, s28, v5
	v_cndmask_b32_e32 v5, v5, v7, vcc
	v_cndmask_b32_e32 v2, v2, v6, vcc
	v_add_u32_e32 v6, 1, v2
	v_cmp_le_u32_e32 vcc, s28, v5
	v_cndmask_b32_e32 v10, v2, v6, vcc
.LBB0_6:                                ;   in Loop: Header=BB0_2 Depth=1
	s_or_b64 exec, exec, s[0:1]
	v_mul_lo_u32 v2, v11, s28
	v_mul_lo_u32 v7, v10, s29
	v_mad_u64_u32 v[5:6], s[0:1], v10, s28, 0
	s_load_dwordx2 s[0:1], s[22:23], 0x0
	s_load_dwordx2 s[28:29], s[6:7], 0x0
	v_add3_u32 v2, v6, v7, v2
	v_sub_co_u32_e32 v3, vcc, v3, v5
	v_subb_co_u32_e32 v2, vcc, v4, v2, vcc
	s_waitcnt lgkmcnt(0)
	v_mul_lo_u32 v4, s0, v2
	v_mul_lo_u32 v5, s1, v3
	v_mad_u64_u32 v[60:61], s[0:1], s0, v3, v[60:61]
	v_mul_lo_u32 v2, s28, v2
	v_mul_lo_u32 v6, s29, v3
	v_mad_u64_u32 v[8:9], s[0:1], s28, v3, v[8:9]
	s_add_u32 s26, s26, 1
	s_addc_u32 s27, s27, 0
	s_add_u32 s6, s6, 8
	v_add3_u32 v9, v6, v9, v2
	s_addc_u32 s7, s7, 0
	v_mov_b32_e32 v2, s14
	s_add_u32 s22, s22, 8
	v_mov_b32_e32 v3, s15
	s_addc_u32 s23, s23, 0
	v_cmp_ge_u64_e32 vcc, s[26:27], v[2:3]
	s_add_u32 s24, s24, 8
	v_add3_u32 v61, v5, v61, v4
	s_addc_u32 s25, s25, 0
	s_cbranch_vccnz .LBB0_9
; %bb.7:                                ;   in Loop: Header=BB0_2 Depth=1
	v_mov_b32_e32 v3, v10
	v_mov_b32_e32 v4, v11
	s_branch .LBB0_2
.LBB0_8:
	v_mov_b32_e32 v8, v60
	v_mov_b32_e32 v11, v4
	;; [unrolled: 1-line block ×4, first 2 shown]
.LBB0_9:
	s_load_dwordx2 s[0:1], s[4:5], 0x28
	s_lshl_b64 s[14:15], s[14:15], 3
	s_add_u32 s4, s18, s14
	s_addc_u32 s5, s19, s15
                                        ; implicit-def: $sgpr18
                                        ; implicit-def: $vgpr92
                                        ; implicit-def: $vgpr93
                                        ; implicit-def: $vgpr94
                                        ; implicit-def: $vgpr96
                                        ; implicit-def: $vgpr98
                                        ; implicit-def: $vgpr99
                                        ; implicit-def: $vgpr101
                                        ; implicit-def: $vgpr79
                                        ; implicit-def: $vgpr80
	s_waitcnt lgkmcnt(0)
	v_cmp_gt_u64_e32 vcc, s[0:1], v[10:11]
	v_cmp_le_u64_e64 s[0:1], s[0:1], v[10:11]
	s_and_saveexec_b64 s[6:7], s[0:1]
	s_xor_b64 s[0:1], exec, s[6:7]
	s_cbranch_execz .LBB0_11
; %bb.10:
	s_mov_b32 s6, 0x4924925
	v_mul_hi_u32 v1, v0, s6
	s_mov_b32 s18, 0
                                        ; implicit-def: $vgpr60_vgpr61
	v_mul_u32_u24_e32 v1, 56, v1
	v_sub_u32_e32 v92, v0, v1
	v_add_u32_e32 v93, 56, v92
	v_add_u32_e32 v94, 0x70, v92
	v_add_u32_e32 v96, 0xa8, v92
	v_add_u32_e32 v98, 0xe0, v92
	v_add_u32_e32 v99, 0x118, v92
	v_add_u32_e32 v101, 0x150, v92
	v_add_u32_e32 v79, 0x188, v92
	v_or_b32_e32 v80, 0x1c0, v92
                                        ; implicit-def: $vgpr0
.LBB0_11:
	s_or_saveexec_b64 s[6:7], s[0:1]
	s_load_dwordx2 s[4:5], s[4:5], 0x0
	v_mov_b32_e32 v4, s18
	v_mov_b32_e32 v3, s18
	;; [unrolled: 1-line block ×4, first 2 shown]
                                        ; implicit-def: $vgpr2
                                        ; implicit-def: $vgpr6
                                        ; implicit-def: $vgpr17
                                        ; implicit-def: $vgpr13
                                        ; implicit-def: $vgpr15
                                        ; implicit-def: $vgpr21
                                        ; implicit-def: $vgpr59
                                        ; implicit-def: $vgpr19
                                        ; implicit-def: $vgpr25
                                        ; implicit-def: $vgpr31
                                        ; implicit-def: $vgpr64
                                        ; implicit-def: $vgpr27
                                        ; implicit-def: $vgpr29
                                        ; implicit-def: $vgpr33
                                        ; implicit-def: $vgpr68
                                        ; implicit-def: $vgpr35
                                        ; implicit-def: $vgpr39
                                        ; implicit-def: $vgpr51
                                        ; implicit-def: $vgpr37
                                        ; implicit-def: $vgpr41
                                        ; implicit-def: $vgpr53
                                        ; implicit-def: $vgpr66
                                        ; implicit-def: $vgpr43
                                        ; implicit-def: $vgpr47
                                        ; implicit-def: $vgpr55
                                        ; implicit-def: $vgpr45
                                        ; implicit-def: $vgpr49
                                        ; implicit-def: $vgpr57
                                        ; implicit-def: $vgpr62
                                        ; implicit-def: $vgpr78
                                        ; implicit-def: $vgpr74
                                        ; implicit-def: $vgpr70
                                        ; implicit-def: $vgpr72
                                        ; implicit-def: $vgpr76
	s_xor_b64 exec, exec, s[6:7]
	s_cbranch_execz .LBB0_15
; %bb.12:
	s_add_u32 s0, s16, s14
	s_mov_b32 s14, 0x4924925
	v_mul_hi_u32 v1, v0, s14
	s_addc_u32 s1, s17, s15
	s_load_dwordx2 s[0:1], s[0:1], 0x0
	v_mul_u32_u24_e32 v1, 56, v1
	v_sub_u32_e32 v92, v0, v1
	v_mad_u64_u32 v[1:2], s[14:15], s2, v92, 0
	s_waitcnt lgkmcnt(0)
	v_mul_lo_u32 v7, s1, v10
	v_mul_lo_u32 v12, s0, v11
	v_mad_u64_u32 v[3:4], s[0:1], s0, v10, 0
	v_mov_b32_e32 v0, v2
	v_mad_u64_u32 v[5:6], s[0:1], s3, v92, v[0:1]
	v_add3_u32 v4, v4, v12, v7
	v_lshlrev_b64 v[3:4], 3, v[3:4]
	v_mov_b32_e32 v0, s9
	v_add_co_u32_e64 v7, s[0:1], s8, v3
	v_add_u32_e32 v13, 0x1ea, v92
	v_mov_b32_e32 v2, v5
	v_addc_co_u32_e64 v12, s[0:1], v0, v4, s[0:1]
	v_mad_u64_u32 v[5:6], s[0:1], s2, v13, 0
	v_lshlrev_b64 v[3:4], 3, v[60:61]
	v_lshlrev_b64 v[1:2], 3, v[1:2]
	v_add_co_u32_e64 v0, s[0:1], v7, v3
	v_mov_b32_e32 v3, v6
	v_addc_co_u32_e64 v7, s[0:1], v12, v4, s[0:1]
	v_mad_u64_u32 v[3:4], s[0:1], s3, v13, v[3:4]
	v_add_u32_e32 v4, 0x3d4, v92
	v_mad_u64_u32 v[12:13], s[0:1], s2, v4, 0
	v_add_co_u32_e64 v22, s[0:1], v0, v1
	v_mov_b32_e32 v6, v3
	v_mov_b32_e32 v3, v13
	v_addc_co_u32_e64 v23, s[0:1], v7, v2, s[0:1]
	v_lshlrev_b64 v[1:2], 3, v[5:6]
	v_mad_u64_u32 v[3:4], s[0:1], s3, v4, v[3:4]
	v_add_u32_e32 v6, 0x5be, v92
	v_mad_u64_u32 v[4:5], s[0:1], s2, v6, 0
	v_add_co_u32_e64 v34, s[0:1], v0, v1
	v_mov_b32_e32 v13, v3
	v_add_u32_e32 v93, 56, v92
	v_addc_co_u32_e64 v35, s[0:1], v7, v2, s[0:1]
	v_lshlrev_b64 v[1:2], 3, v[12:13]
	v_mov_b32_e32 v3, v5
	v_mad_u64_u32 v[12:13], s[0:1], s2, v93, 0
	v_mad_u64_u32 v[5:6], s[0:1], s3, v6, v[3:4]
	v_add_co_u32_e64 v36, s[0:1], v0, v1
	v_mov_b32_e32 v3, v13
	v_addc_co_u32_e64 v37, s[0:1], v7, v2, s[0:1]
	v_lshlrev_b64 v[1:2], 3, v[4:5]
	v_mad_u64_u32 v[3:4], s[0:1], s3, v93, v[3:4]
	v_add_u32_e32 v6, 0x222, v92
	v_mad_u64_u32 v[4:5], s[0:1], s2, v6, 0
	v_add_co_u32_e64 v38, s[0:1], v0, v1
	v_mov_b32_e32 v13, v3
	v_mov_b32_e32 v3, v5
	v_addc_co_u32_e64 v39, s[0:1], v7, v2, s[0:1]
	v_mad_u64_u32 v[5:6], s[0:1], s3, v6, v[3:4]
	v_add_u32_e32 v6, 0x40c, v92
	v_lshlrev_b64 v[1:2], 3, v[12:13]
	v_mad_u64_u32 v[12:13], s[0:1], s2, v6, 0
	v_add_co_u32_e64 v40, s[0:1], v0, v1
	v_mov_b32_e32 v3, v13
	v_addc_co_u32_e64 v41, s[0:1], v7, v2, s[0:1]
	v_lshlrev_b64 v[1:2], 3, v[4:5]
	v_mad_u64_u32 v[3:4], s[0:1], s3, v6, v[3:4]
	v_add_u32_e32 v6, 0x5f6, v92
	v_mad_u64_u32 v[4:5], s[0:1], s2, v6, 0
	v_add_co_u32_e64 v42, s[0:1], v0, v1
	v_mov_b32_e32 v13, v3
	v_add_u32_e32 v94, 0x70, v92
	v_addc_co_u32_e64 v43, s[0:1], v7, v2, s[0:1]
	v_lshlrev_b64 v[1:2], 3, v[12:13]
	v_mov_b32_e32 v3, v5
	v_mad_u64_u32 v[12:13], s[0:1], s2, v94, 0
	v_mad_u64_u32 v[5:6], s[0:1], s3, v6, v[3:4]
	v_add_co_u32_e64 v44, s[0:1], v0, v1
	v_mov_b32_e32 v3, v13
	v_addc_co_u32_e64 v45, s[0:1], v7, v2, s[0:1]
	v_lshlrev_b64 v[1:2], 3, v[4:5]
	v_mad_u64_u32 v[3:4], s[0:1], s3, v94, v[3:4]
	v_add_u32_e32 v6, 0x25a, v92
	v_mad_u64_u32 v[4:5], s[0:1], s2, v6, 0
	v_add_co_u32_e64 v46, s[0:1], v0, v1
	v_mov_b32_e32 v13, v3
	v_mov_b32_e32 v3, v5
	v_addc_co_u32_e64 v47, s[0:1], v7, v2, s[0:1]
	v_mad_u64_u32 v[5:6], s[0:1], s3, v6, v[3:4]
	v_add_u32_e32 v6, 0x444, v92
	v_lshlrev_b64 v[1:2], 3, v[12:13]
	v_mad_u64_u32 v[12:13], s[0:1], s2, v6, 0
	v_add_co_u32_e64 v48, s[0:1], v0, v1
	;; [unrolled: 30-line block ×7, first 2 shown]
	v_mov_b32_e32 v3, v13
	v_addc_co_u32_e64 v113, s[0:1], v7, v2, s[0:1]
	v_lshlrev_b64 v[1:2], 3, v[4:5]
	v_mad_u64_u32 v[3:4], s[0:1], s3, v6, v[3:4]
	v_add_u32_e32 v6, 0x746, v92
	v_mad_u64_u32 v[4:5], s[0:1], s2, v6, 0
	v_add_co_u32_e64 v114, s[0:1], v0, v1
	v_mov_b32_e32 v13, v3
	v_mov_b32_e32 v3, v5
	v_addc_co_u32_e64 v115, s[0:1], v7, v2, s[0:1]
	v_mad_u64_u32 v[5:6], s[0:1], s3, v6, v[3:4]
	v_lshlrev_b64 v[1:2], 3, v[12:13]
	v_add_co_u32_e64 v116, s[0:1], v0, v1
	v_addc_co_u32_e64 v117, s[0:1], v7, v2, s[0:1]
	v_lshlrev_b64 v[1:2], 3, v[4:5]
	v_add_co_u32_e64 v3, s[0:1], v0, v1
	v_addc_co_u32_e64 v4, s[0:1], v7, v2, s[0:1]
	global_load_dwordx2 v[1:2], v[22:23], off
	global_load_dwordx2 v[5:6], v[34:35], off
	;; [unrolled: 1-line block ×15, first 2 shown]
                                        ; kill: killed $vgpr46 killed $vgpr47
                                        ; kill: killed $vgpr56 killed $vgpr57
                                        ; kill: killed $vgpr48 killed $vgpr49
                                        ; kill: killed $vgpr40 killed $vgpr41
                                        ; kill: killed $vgpr34 killed $vgpr35
                                        ; kill: killed $vgpr65 killed $vgpr66
                                        ; kill: killed $vgpr52 killed $vgpr53
                                        ; kill: killed $vgpr44 killed $vgpr45
                                        ; kill: killed $vgpr38 killed $vgpr39
                                        ; kill: killed $vgpr22 killed $vgpr23
                                        ; kill: killed $vgpr60 killed $vgpr61
                                        ; kill: killed $vgpr50 killed $vgpr51
                                        ; kill: killed $vgpr42 killed $vgpr43
                                        ; kill: killed $vgpr36 killed $vgpr37
                                        ; kill: killed $vgpr54 killed $vgpr55
	global_load_dwordx2 v[67:68], v[73:74], off
	global_load_dwordx2 v[34:35], v[77:78], off
	;; [unrolled: 1-line block ×15, first 2 shown]
                                        ; kill: killed $vgpr86 killed $vgpr87
                                        ; kill: killed $vgpr77 killed $vgpr78
                                        ; kill: killed $vgpr108 killed $vgpr109
                                        ; kill: killed $vgpr90 killed $vgpr91
                                        ; kill: killed $vgpr82 killed $vgpr83
                                        ; kill: killed $vgpr114 killed $vgpr115
                                        ; kill: killed $vgpr106 killed $vgpr107
                                        ; kill: killed $vgpr88 killed $vgpr89
                                        ; kill: killed $vgpr80 killed $vgpr81
                                        ; kill: killed $vgpr110 killed $vgpr111
                                        ; kill: killed $vgpr102 killed $vgpr103
                                        ; kill: killed $vgpr84 killed $vgpr85
                                        ; kill: killed $vgpr73 killed $vgpr74
                                        ; kill: killed $vgpr112 killed $vgpr113
                                        ; kill: killed $vgpr104 killed $vgpr105
	global_load_dwordx2 v[56:57], v[116:117], off
	global_load_dwordx2 v[73:74], v[3:4], off
	s_movk_i32 s0, 0x1ea
	v_or_b32_e32 v80, 0x1c0, v92
	v_cmp_gt_u32_e64 s[0:1], s0, v80
	v_mov_b32_e32 v22, 0
	v_mov_b32_e32 v23, 0
	;; [unrolled: 1-line block ×4, first 2 shown]
                                        ; implicit-def: $vgpr77
                                        ; implicit-def: $vgpr61
	s_and_saveexec_b64 s[8:9], s[0:1]
	s_cbranch_execz .LBB0_14
; %bb.13:
	v_mad_u64_u32 v[3:4], s[0:1], s2, v80, 0
	v_add_u32_e32 v62, 0x3aa, v92
	v_mad_u64_u32 v[22:23], s[0:1], s2, v62, 0
	s_waitcnt vmcnt(30)
	v_mad_u64_u32 v[60:61], s[0:1], s3, v80, v[4:5]
	v_add_u32_e32 v77, 0x594, v92
	v_mov_b32_e32 v4, v60
	s_waitcnt vmcnt(22)
	v_mad_u64_u32 v[60:61], s[0:1], s3, v62, v[23:24]
	v_mad_u64_u32 v[61:62], s[0:1], s2, v77, 0
	v_lshlrev_b64 v[3:4], 3, v[3:4]
	v_mov_b32_e32 v23, v60
	v_add_co_u32_e64 v81, s[0:1], v0, v3
	v_addc_co_u32_e64 v82, s[0:1], v7, v4, s[0:1]
	v_lshlrev_b64 v[3:4], 3, v[22:23]
	v_mov_b32_e32 v22, v62
	v_mad_u64_u32 v[22:23], s[0:1], s3, v77, v[22:23]
	v_add_u32_e32 v23, 0x77e, v92
	v_mad_u64_u32 v[77:78], s[0:1], s2, v23, 0
	v_add_co_u32_e64 v83, s[0:1], v0, v3
	v_mov_b32_e32 v62, v22
	v_mov_b32_e32 v22, v78
	v_addc_co_u32_e64 v84, s[0:1], v7, v4, s[0:1]
	v_mad_u64_u32 v[22:23], s[0:1], s3, v23, v[22:23]
	v_lshlrev_b64 v[3:4], 3, v[61:62]
	v_add_co_u32_e64 v85, s[0:1], v0, v3
	v_mov_b32_e32 v78, v22
	v_addc_co_u32_e64 v86, s[0:1], v7, v4, s[0:1]
	v_lshlrev_b64 v[3:4], 3, v[77:78]
	v_add_co_u32_e64 v87, s[0:1], v0, v3
	v_addc_co_u32_e64 v88, s[0:1], v7, v4, s[0:1]
	global_load_dwordx2 v[3:4], v[81:82], off
	global_load_dwordx2 v[22:23], v[83:84], off
	;; [unrolled: 1-line block ×4, first 2 shown]
.LBB0_14:
	s_or_b64 exec, exec, s[8:9]
.LBB0_15:
	s_or_b64 exec, exec, s[6:7]
	s_waitcnt vmcnt(29)
	v_sub_f32_e32 v0, v1, v16
	s_waitcnt vmcnt(28)
	v_sub_f32_e32 v7, v5, v75
	v_sub_f32_e32 v16, v6, v76
	v_fma_f32 v1, v1, 2.0, -v0
	v_fma_f32 v5, v5, 2.0, -v7
	v_add_f32_e32 v76, v0, v16
	v_sub_f32_e32 v75, v1, v5
	v_fma_f32 v82, v0, 2.0, -v76
	s_waitcnt vmcnt(25)
	v_sub_f32_e32 v0, v12, v20
	s_waitcnt vmcnt(24)
	v_sub_f32_e32 v5, v14, v58
	v_sub_f32_e32 v20, v15, v59
	v_fma_f32 v81, v1, 2.0, -v75
	v_fma_f32 v1, v12, 2.0, -v0
	;; [unrolled: 1-line block ×3, first 2 shown]
	v_add_f32_e32 v59, v0, v20
	v_sub_f32_e32 v58, v1, v12
	v_fma_f32 v84, v0, 2.0, -v59
	s_waitcnt vmcnt(21)
	v_sub_f32_e32 v0, v18, v30
	v_fma_f32 v83, v1, 2.0, -v58
	v_fma_f32 v1, v18, 2.0, -v0
	s_waitcnt vmcnt(20)
	v_sub_f32_e32 v12, v24, v63
	v_sub_f32_e32 v18, v25, v64
	v_fma_f32 v14, v24, 2.0, -v12
	v_add_f32_e32 v64, v0, v18
	v_sub_f32_e32 v63, v1, v14
	v_fma_f32 v86, v0, 2.0, -v64
	s_waitcnt vmcnt(17)
	v_sub_f32_e32 v0, v26, v32
	v_fma_f32 v85, v1, 2.0, -v63
	v_fma_f32 v1, v26, 2.0, -v0
	s_waitcnt vmcnt(16)
	v_sub_f32_e32 v14, v28, v67
	v_sub_f32_e32 v26, v29, v68
	v_fma_f32 v24, v28, 2.0, -v14
	v_add_f32_e32 v68, v0, v26
	v_sub_f32_e32 v67, v1, v24
	v_fma_f32 v88, v0, 2.0, -v68
	s_waitcnt vmcnt(13)
	v_sub_f32_e32 v0, v34, v50
	s_waitcnt vmcnt(12)
	v_sub_f32_e32 v24, v38, v71
	v_sub_f32_e32 v30, v39, v72
	v_fma_f32 v87, v1, 2.0, -v67
	v_fma_f32 v1, v34, 2.0, -v0
	v_fma_f32 v28, v38, 2.0, -v24
	v_add_f32_e32 v72, v0, v30
	v_sub_f32_e32 v71, v1, v28
	v_fma_f32 v90, v0, 2.0, -v72
	s_waitcnt vmcnt(9)
	v_sub_f32_e32 v0, v36, v52
	s_waitcnt vmcnt(8)
	v_sub_f32_e32 v28, v40, v65
	v_sub_f32_e32 v34, v41, v66
	v_fma_f32 v89, v1, 2.0, -v71
	v_fma_f32 v1, v36, 2.0, -v0
	v_fma_f32 v32, v40, 2.0, -v28
	v_add_f32_e32 v66, v0, v34
	v_sub_f32_e32 v65, v1, v32
	v_fma_f32 v103, v0, 2.0, -v66
	s_waitcnt vmcnt(5)
	v_sub_f32_e32 v0, v42, v54
	s_waitcnt vmcnt(4)
	v_sub_f32_e32 v32, v46, v69
	v_sub_f32_e32 v38, v47, v70
	v_fma_f32 v102, v1, 2.0, -v65
	v_fma_f32 v1, v42, 2.0, -v0
	v_fma_f32 v36, v46, 2.0, -v32
	v_add_f32_e32 v70, v0, v38
	v_sub_f32_e32 v69, v1, v36
	v_fma_f32 v105, v0, 2.0, -v70
	s_waitcnt vmcnt(1)
	v_sub_f32_e32 v0, v44, v56
	s_waitcnt vmcnt(0)
	v_sub_f32_e32 v36, v48, v73
	v_sub_f32_e32 v42, v49, v74
	v_fma_f32 v104, v1, 2.0, -v69
	v_fma_f32 v1, v44, 2.0, -v0
	v_fma_f32 v40, v48, 2.0, -v36
	v_add_f32_e32 v74, v0, v42
	v_sub_f32_e32 v73, v1, v40
	v_fma_f32 v107, v0, 2.0, -v74
	v_sub_f32_e32 v0, v3, v61
	v_sub_f32_e32 v44, v23, v78
	v_lshl_add_u32 v48, v92, 4, 0
	v_lshl_add_u32 v52, v93, 4, 0
	v_fma_f32 v106, v1, 2.0, -v73
	v_sub_f32_e32 v50, v22, v77
	v_add_f32_e32 v1, v0, v44
	ds_write2_b64 v48, v[81:82], v[75:76] offset1:1
	ds_write2_b64 v52, v[83:84], v[58:59] offset1:1
	v_lshl_add_u32 v54, v94, 4, 0
	v_lshl_add_u32 v56, v96, 4, 0
	;; [unrolled: 1-line block ×6, first 2 shown]
	v_cmp_gt_u32_e64 s[0:1], 42, v92
	v_lshl_add_u32 v46, v80, 4, 0
	ds_write2_b64 v54, v[85:86], v[63:64] offset1:1
	ds_write2_b64 v56, v[87:88], v[67:68] offset1:1
	ds_write2_b64 v58, v[89:90], v[71:72] offset1:1
	ds_write2_b64 v40, v[102:103], v[65:66] offset1:1
	ds_write2_b64 v59, v[104:105], v[69:70] offset1:1
	ds_write2_b64 v61, v[106:107], v[73:74] offset1:1
	s_and_saveexec_b64 s[2:3], s[0:1]
	s_cbranch_execz .LBB0_17
; %bb.16:
	v_fma_f32 v64, v0, 2.0, -v1
	v_fma_f32 v3, v3, 2.0, -v0
	;; [unrolled: 1-line block ×3, first 2 shown]
	v_sub_f32_e32 v0, v3, v0
	v_fma_f32 v63, v3, 2.0, -v0
	ds_write2_b64 v46, v[63:64], v[0:1] offset1:1
.LBB0_17:
	s_or_b64 exec, exec, s[2:3]
	v_sub_f32_e32 v0, v2, v17
	v_fma_f32 v2, v2, 2.0, -v0
	v_fma_f32 v3, v6, 2.0, -v16
	v_sub_f32_e32 v64, v0, v7
	v_sub_f32_e32 v63, v2, v3
	v_fma_f32 v66, v0, 2.0, -v64
	v_sub_f32_e32 v0, v13, v21
	v_fma_f32 v65, v2, 2.0, -v63
	v_fma_f32 v2, v13, 2.0, -v0
	v_fma_f32 v3, v15, 2.0, -v20
	v_sub_f32_e32 v68, v0, v5
	v_sub_f32_e32 v67, v2, v3
	v_fma_f32 v70, v0, 2.0, -v68
	v_sub_f32_e32 v0, v19, v31
	v_fma_f32 v69, v2, 2.0, -v67
	v_fma_f32 v2, v19, 2.0, -v0
	v_fma_f32 v3, v25, 2.0, -v18
	v_sub_f32_e32 v72, v0, v12
	v_sub_f32_e32 v71, v2, v3
	v_fma_f32 v74, v0, 2.0, -v72
	v_sub_f32_e32 v0, v27, v33
	v_fma_f32 v73, v2, 2.0, -v71
	v_fma_f32 v2, v27, 2.0, -v0
	v_fma_f32 v3, v29, 2.0, -v26
	v_sub_f32_e32 v76, v0, v14
	v_sub_f32_e32 v75, v2, v3
	v_fma_f32 v78, v0, 2.0, -v76
	v_sub_f32_e32 v0, v35, v51
	v_fma_f32 v77, v2, 2.0, -v75
	v_fma_f32 v2, v35, 2.0, -v0
	v_fma_f32 v3, v39, 2.0, -v30
	v_sub_f32_e32 v82, v0, v24
	v_sub_f32_e32 v81, v2, v3
	v_fma_f32 v84, v0, 2.0, -v82
	v_sub_f32_e32 v0, v37, v53
	v_fma_f32 v83, v2, 2.0, -v81
	v_fma_f32 v2, v37, 2.0, -v0
	v_fma_f32 v3, v41, 2.0, -v34
	v_sub_f32_e32 v86, v0, v28
	v_sub_f32_e32 v85, v2, v3
	v_fma_f32 v88, v0, 2.0, -v86
	v_sub_f32_e32 v0, v43, v55
	v_fma_f32 v87, v2, 2.0, -v85
	v_fma_f32 v2, v43, 2.0, -v0
	v_fma_f32 v3, v47, 2.0, -v38
	v_sub_f32_e32 v90, v0, v32
	v_sub_f32_e32 v89, v2, v3
	v_fma_f32 v110, v0, 2.0, -v90
	v_sub_f32_e32 v0, v45, v57
	v_fma_f32 v109, v2, 2.0, -v89
	v_fma_f32 v2, v45, 2.0, -v0
	v_fma_f32 v3, v49, 2.0, -v42
	v_sub_f32_e32 v111, v2, v3
	v_sub_f32_e32 v112, v0, v36
	v_lshl_add_u32 v95, v92, 2, 0
	v_fma_f32 v113, v2, 2.0, -v111
	v_fma_f32 v114, v0, 2.0, -v112
	v_sub_f32_e32 v53, v4, v62
	v_mad_i32_i24 v2, v99, -12, v40
	v_add_u32_e32 v41, 0x800, v95
	v_add_u32_e32 v22, 0xc00, v95
	;; [unrolled: 1-line block ×6, first 2 shown]
	v_lshl_add_u32 v100, v94, 2, 0
	v_add_u32_e32 v49, 0x1200, v95
	v_add_u32_e32 v51, 0x1c00, v95
	;; [unrolled: 1-line block ×3, first 2 shown]
	v_sub_f32_e32 v3, v53, v50
	s_waitcnt lgkmcnt(0)
	; wave barrier
	s_waitcnt lgkmcnt(0)
	ds_read_b32 v108, v95
	ds_read2_b32 v[34:35], v41 offset0:48 offset1:104
	ds_read2_b32 v[12:13], v22 offset0:16 offset1:72
	;; [unrolled: 1-line block ×5, first 2 shown]
	v_lshl_add_u32 v97, v93, 2, 0
	ds_read2_b32 v[32:33], v47 offset0:80 offset1:136
	ds_read2_b32 v[30:31], v22 offset0:128 offset1:184
	;; [unrolled: 1-line block ×5, first 2 shown]
	ds_read2_b32 v[20:21], v51 offset1:56
	v_lshl_add_u32 v102, v96, 2, 0
	ds_read_b32 v106, v100
	ds_read_b32 v105, v102
	ds_read2_b32 v[18:19], v47 offset0:192 offset1:248
	ds_read2_b32 v[16:17], v7 offset0:112 offset1:168
	;; [unrolled: 1-line block ×3, first 2 shown]
	v_lshl_add_u32 v103, v98, 2, 0
	ds_read_b32 v60, v2
	ds_read_b32 v50, v103
	;; [unrolled: 1-line block ×3, first 2 shown]
	ds_read_b32 v116, v95 offset:7616
	v_mul_i32_i24_e32 v45, -12, v99
	s_waitcnt lgkmcnt(0)
	; wave barrier
	s_waitcnt lgkmcnt(0)
	ds_write2_b64 v48, v[65:66], v[63:64] offset1:1
	ds_write2_b64 v52, v[69:70], v[67:68] offset1:1
	;; [unrolled: 1-line block ×8, first 2 shown]
	s_and_saveexec_b64 s[2:3], s[0:1]
	s_cbranch_execz .LBB0_19
; %bb.18:
	v_fma_f32 v4, v4, 2.0, -v53
	v_fma_f32 v2, v23, 2.0, -v44
	v_sub_f32_e32 v2, v4, v2
	v_fma_f32 v52, v4, 2.0, -v2
	v_fma_f32 v53, v53, 2.0, -v3
	ds_write2_b64 v46, v[52:53], v[2:3] offset1:1
.LBB0_19:
	s_or_b64 exec, exec, s[2:3]
	v_and_b32_e32 v4, 3, v92
	v_mul_u32_u24_e32 v2, 6, v4
	v_lshlrev_b32_e32 v2, 3, v2
	s_waitcnt lgkmcnt(0)
	; wave barrier
	s_waitcnt lgkmcnt(0)
	global_load_dwordx4 v[117:120], v2, s[12:13]
	global_load_dwordx4 v[121:124], v2, s[12:13] offset:16
	global_load_dwordx4 v[126:129], v2, s[12:13] offset:32
	v_add_u32_e32 v104, v40, v45
	ds_read2_b32 v[61:62], v41 offset0:48 offset1:104
	ds_read2_b32 v[65:66], v22 offset0:16 offset1:72
	;; [unrolled: 1-line block ×10, first 2 shown]
	ds_read2_b32 v[136:137], v51 offset1:56
	ds_read_b32 v40, v102
	ds_read2_b32 v[138:139], v47 offset0:192 offset1:248
	ds_read2_b32 v[140:141], v7 offset0:112 offset1:168
	ds_read_b32 v23, v104
	ds_read2_b32 v[142:143], v42 offset0:32 offset1:88
	ds_read_b32 v44, v95
	ds_read_b32 v144, v95 offset:7616
	ds_read_b32 v2, v103
	s_mov_b32 s6, 0xbf5ff5aa
	s_mov_b32 s7, 0x3f3bfb3b
	;; [unrolled: 1-line block ×4, first 2 shown]
	v_cmp_gt_u32_e64 s[0:1], 28, v92
	s_waitcnt vmcnt(2)
	v_mul_f32_e32 v85, v35, v120
	s_waitcnt vmcnt(1)
	v_mul_f32_e32 v76, v13, v122
	s_waitcnt vmcnt(0) lgkmcnt(14)
	v_mul_f32_e32 v56, v131, v127
	v_mul_f32_e32 v82, v6, v127
	v_fmac_f32_e32 v56, v6, v126
	v_mul_f32_e32 v6, v31, v122
	v_mul_f32_e32 v81, v36, v124
	v_fma_f32 v113, v66, v121, -v76
	s_waitcnt lgkmcnt(12)
	v_fma_f32 v76, v75, v121, -v6
	v_mul_f32_e32 v6, v24, v124
	v_mul_f32_e32 v83, v38, v129
	v_fma_f32 v111, v63, v123, -v81
	s_waitcnt lgkmcnt(9)
	v_fma_f32 v81, v134, v123, -v6
	v_mul_f32_e32 v6, v29, v127
	v_fma_f32 v112, v67, v128, -v83
	v_fma_f32 v83, v78, v126, -v6
	v_mul_f32_e32 v6, v20, v129
	v_fma_f32 v86, v62, v119, -v85
	s_waitcnt lgkmcnt(8)
	v_fma_f32 v85, v136, v128, -v6
	v_mul_f32_e32 v6, v18, v118
	v_mul_f32_e32 v53, v63, v124
	s_waitcnt lgkmcnt(6)
	v_fma_f32 v63, v138, v117, -v6
	v_mul_f32_e32 v6, v27, v120
	v_mul_f32_e32 v51, v66, v122
	v_fma_f32 v66, v133, v119, -v6
	v_mul_f32_e32 v6, v16, v122
	v_mul_f32_e32 v58, v67, v129
	;; [unrolled: 1-line block ×3, first 2 shown]
	s_waitcnt lgkmcnt(5)
	v_fma_f32 v67, v140, v121, -v6
	v_mul_f32_e32 v6, v25, v124
	v_mul_f32_e32 v72, v60, v118
	;; [unrolled: 1-line block ×3, first 2 shown]
	v_fma_f32 v90, v70, v117, -v84
	v_fma_f32 v70, v135, v123, -v6
	v_mul_f32_e32 v6, v14, v127
	v_fmac_f32_e32 v58, v38, v128
	s_waitcnt lgkmcnt(4)
	v_fma_f32 v114, v23, v117, -v72
	s_waitcnt lgkmcnt(3)
	v_fma_f32 v72, v142, v126, -v6
	v_mul_f32_e32 v6, v21, v129
	v_mul_f32_e32 v38, v130, v124
	;; [unrolled: 1-line block ×4, first 2 shown]
	v_fma_f32 v115, v131, v126, -v82
	v_mul_f32_e32 v82, v78, v127
	v_fma_f32 v78, v137, v128, -v6
	v_mul_f32_e32 v6, v19, v118
	v_fmac_f32_e32 v38, v5, v123
	v_mul_f32_e32 v5, v5, v124
	v_mul_f32_e32 v73, v34, v120
	;; [unrolled: 1-line block ×4, first 2 shown]
	v_fmac_f32_e32 v48, v34, v119
	v_fmac_f32_e32 v47, v60, v117
	v_fma_f32 v34, v139, v117, -v6
	v_mul_f32_e32 v6, v12, v120
	v_fma_f32 v60, v130, v123, -v5
	v_mul_f32_e32 v5, v15, v127
	v_mul_f32_e32 v87, v37, v124
	;; [unrolled: 1-line block ×4, first 2 shown]
	v_fma_f32 v110, v61, v119, -v73
	v_fmac_f32_e32 v53, v36, v123
	v_fmac_f32_e32 v52, v33, v117
	v_fma_f32 v73, v71, v117, -v109
	v_mul_f32_e32 v71, v142, v127
	v_mul_f32_e32 v33, v65, v120
	v_fma_f32 v36, v65, v119, -v6
	v_mul_f32_e32 v61, v143, v127
	v_fma_f32 v65, v143, v126, -v5
	v_mul_f32_e32 v5, v116, v129
	v_mul_f32_e32 v46, v62, v120
	;; [unrolled: 1-line block ×3, first 2 shown]
	v_fma_f32 v87, v64, v123, -v87
	v_fmac_f32_e32 v51, v13, v121
	v_fmac_f32_e32 v57, v28, v126
	v_fma_f32 v91, v77, v126, -v91
	v_fmac_f32_e32 v82, v29, v126
	v_mul_f32_e32 v64, v140, v122
	v_fmac_f32_e32 v71, v14, v126
	v_fmac_f32_e32 v33, v12, v119
	;; [unrolled: 1-line block ×3, first 2 shown]
	s_waitcnt lgkmcnt(1)
	v_fma_f32 v126, v144, v128, -v5
	v_add_f32_e32 v5, v47, v58
	v_add_f32_e32 v12, v48, v56
	v_mul_f32_e32 v69, v68, v129
	v_fmac_f32_e32 v46, v35, v119
	v_fmac_f32_e32 v64, v16, v121
	v_mul_f32_e32 v35, v141, v122
	v_add_f32_e32 v14, v51, v53
	v_add_f32_e32 v16, v12, v5
	v_mul_f32_e32 v88, v39, v129
	v_fmac_f32_e32 v69, v39, v128
	v_fmac_f32_e32 v45, v32, v117
	v_mul_f32_e32 v39, v138, v118
	v_mul_f32_e32 v32, v139, v118
	v_fmac_f32_e32 v35, v17, v121
	v_mul_f32_e32 v6, v17, v122
	v_sub_f32_e32 v13, v110, v115
	v_sub_f32_e32 v15, v111, v113
	;; [unrolled: 1-line block ×5, first 2 shown]
	v_add_f32_e32 v14, v14, v16
	v_mul_f32_e32 v59, v75, v122
	v_fmac_f32_e32 v55, v37, v123
	v_fmac_f32_e32 v39, v18, v117
	v_mul_f32_e32 v75, v137, v129
	v_fmac_f32_e32 v32, v19, v117
	v_fma_f32 v37, v141, v121, -v6
	v_sub_f32_e32 v6, v114, v112
	v_add_f32_e32 v18, v15, v13
	v_sub_f32_e32 v19, v15, v13
	v_add_f32_e32 v16, v108, v14
	v_mul_f32_e32 v84, v136, v129
	v_fmac_f32_e32 v75, v21, v128
	v_sub_f32_e32 v15, v6, v15
	v_sub_f32_e32 v13, v13, v6
	v_add_f32_e32 v6, v18, v6
	v_mul_f32_e32 v5, 0x3f4a47b2, v5
	v_mul_f32_e32 v18, 0x3d64c772, v12
	;; [unrolled: 1-line block ×3, first 2 shown]
	v_mov_b32_e32 v21, v16
	v_fmac_f32_e32 v84, v20, v128
	v_mul_f32_e32 v20, 0xbf5ff5aa, v13
	v_fmac_f32_e32 v21, 0xbf955555, v14
	v_fma_f32 v14, v17, s7, -v18
	v_fma_f32 v17, v17, s9, -v5
	v_fmac_f32_e32 v5, 0x3d64c772, v12
	v_fma_f32 v12, v13, s6, -v19
	v_fmac_f32_e32 v19, 0xbeae86e6, v15
	v_mul_f32_e32 v49, v74, v122
	v_fma_f32 v13, v15, s8, -v20
	v_add_f32_e32 v5, v5, v21
	v_add_f32_e32 v14, v14, v21
	v_fmac_f32_e32 v19, 0xbee1c552, v6
	v_fmac_f32_e32 v12, 0xbee1c552, v6
	v_mul_f32_e32 v89, v30, v122
	v_fmac_f32_e32 v49, v30, v121
	v_mul_f32_e32 v77, v134, v124
	v_fmac_f32_e32 v13, 0xbee1c552, v6
	v_add_f32_e32 v6, v19, v5
	v_sub_f32_e32 v18, v14, v12
	v_add_f32_e32 v12, v12, v14
	v_sub_f32_e32 v5, v5, v19
	v_add_f32_e32 v14, v45, v69
	v_add_f32_e32 v19, v46, v57
	v_fma_f32 v88, v68, v128, -v88
	v_fma_f32 v89, v74, v121, -v89
	v_fmac_f32_e32 v77, v24, v123
	v_mul_f32_e32 v68, v135, v124
	v_add_f32_e32 v15, v17, v21
	v_add_f32_e32 v21, v49, v55
	;; [unrolled: 1-line block ×3, first 2 shown]
	v_mul_f32_e32 v54, v132, v120
	v_mul_f32_e32 v62, v133, v120
	v_fmac_f32_e32 v68, v25, v123
	v_sub_f32_e32 v20, v86, v91
	v_sub_f32_e32 v23, v87, v89
	v_sub_f32_e32 v25, v19, v14
	v_sub_f32_e32 v14, v14, v21
	v_sub_f32_e32 v19, v21, v19
	v_add_f32_e32 v21, v21, v24
	v_mul_f32_e32 v125, v26, v120
	v_fmac_f32_e32 v54, v26, v119
	v_fmac_f32_e32 v62, v27, v119
	v_add_f32_e32 v17, v13, v15
	v_sub_f32_e32 v13, v15, v13
	v_sub_f32_e32 v15, v90, v88
	v_add_f32_e32 v26, v23, v20
	v_sub_f32_e32 v27, v23, v20
	v_add_f32_e32 v24, v107, v21
	v_sub_f32_e32 v23, v15, v23
	v_sub_f32_e32 v20, v20, v15
	v_add_f32_e32 v15, v26, v15
	v_mul_f32_e32 v14, 0x3f4a47b2, v14
	v_mul_f32_e32 v26, 0x3d64c772, v19
	;; [unrolled: 1-line block ×3, first 2 shown]
	v_mov_b32_e32 v29, v24
	v_mul_f32_e32 v28, 0xbf5ff5aa, v20
	v_fmac_f32_e32 v29, 0xbf955555, v21
	v_fma_f32 v21, v25, s7, -v26
	v_fma_f32 v25, v25, s9, -v14
	v_fmac_f32_e32 v14, 0x3d64c772, v19
	v_fma_f32 v19, v20, s6, -v27
	v_fmac_f32_e32 v27, 0xbeae86e6, v23
	v_fma_f32 v20, v23, s8, -v28
	v_add_f32_e32 v14, v14, v29
	v_add_f32_e32 v21, v21, v29
	v_fmac_f32_e32 v27, 0xbee1c552, v15
	v_fmac_f32_e32 v19, 0xbee1c552, v15
	v_fmac_f32_e32 v59, v31, v121
	v_fmac_f32_e32 v20, 0xbee1c552, v15
	v_add_f32_e32 v15, v27, v14
	v_sub_f32_e32 v26, v21, v19
	v_add_f32_e32 v19, v19, v21
	v_sub_f32_e32 v14, v14, v27
	v_add_f32_e32 v21, v52, v84
	v_add_f32_e32 v27, v54, v82
	v_fma_f32 v74, v132, v119, -v125
	v_add_f32_e32 v23, v25, v29
	v_add_f32_e32 v29, v59, v77
	;; [unrolled: 1-line block ×3, first 2 shown]
	v_mul_f32_e32 v125, v144, v129
	v_sub_f32_e32 v28, v74, v83
	v_sub_f32_e32 v30, v81, v76
	;; [unrolled: 1-line block ×5, first 2 shown]
	v_add_f32_e32 v29, v29, v31
	v_fmac_f32_e32 v125, v116, v128
	v_add_f32_e32 v25, v20, v23
	v_sub_f32_e32 v20, v23, v20
	v_sub_f32_e32 v23, v73, v85
	v_add_f32_e32 v108, v30, v28
	v_sub_f32_e32 v116, v30, v28
	v_add_f32_e32 v31, v106, v29
	v_sub_f32_e32 v30, v23, v30
	v_sub_f32_e32 v28, v28, v23
	v_add_f32_e32 v23, v108, v23
	v_mul_f32_e32 v21, 0x3f4a47b2, v21
	v_mul_f32_e32 v106, 0x3d64c772, v27
	;; [unrolled: 1-line block ×3, first 2 shown]
	v_mov_b32_e32 v117, v31
	v_fmac_f32_e32 v117, 0xbf955555, v29
	v_fma_f32 v29, v107, s7, -v106
	v_fma_f32 v106, v107, s9, -v21
	v_fmac_f32_e32 v21, 0x3d64c772, v27
	v_fma_f32 v27, v28, s6, -v108
	v_mul_f32_e32 v116, 0xbf5ff5aa, v28
	v_add_f32_e32 v29, v29, v117
	v_fmac_f32_e32 v27, 0xbee1c552, v23
	v_fmac_f32_e32 v108, 0xbeae86e6, v30
	v_fma_f32 v28, v30, s8, -v116
	v_sub_f32_e32 v116, v29, v27
	v_add_f32_e32 v27, v27, v29
	v_add_f32_e32 v29, v39, v75
	;; [unrolled: 1-line block ×5, first 2 shown]
	v_fmac_f32_e32 v108, 0xbee1c552, v23
	v_add_f32_e32 v117, v64, v68
	v_add_f32_e32 v119, v107, v29
	v_fmac_f32_e32 v28, 0xbee1c552, v23
	v_add_f32_e32 v23, v108, v21
	v_sub_f32_e32 v21, v21, v108
	v_sub_f32_e32 v108, v66, v72
	;; [unrolled: 1-line block ×6, first 2 shown]
	v_add_f32_e32 v117, v117, v119
	v_add_f32_e32 v106, v28, v30
	v_sub_f32_e32 v28, v30, v28
	v_sub_f32_e32 v30, v63, v78
	v_add_f32_e32 v121, v118, v108
	v_add_f32_e32 v105, v105, v117
	v_sub_f32_e32 v119, v118, v108
	v_sub_f32_e32 v118, v30, v118
	;; [unrolled: 1-line block ×3, first 2 shown]
	v_add_f32_e32 v30, v121, v30
	v_mov_b32_e32 v121, v105
	v_mul_f32_e32 v29, 0x3f4a47b2, v29
	v_fmac_f32_e32 v121, 0xbf955555, v117
	v_mul_f32_e32 v117, 0x3d64c772, v107
	v_mul_f32_e32 v119, 0x3f08b237, v119
	v_fma_f32 v117, v120, s7, -v117
	v_fma_f32 v120, v120, s9, -v29
	v_fmac_f32_e32 v29, 0x3d64c772, v107
	v_mul_f32_e32 v107, 0xbf5ff5aa, v108
	v_fma_f32 v108, v108, s6, -v119
	v_fmac_f32_e32 v119, 0xbeae86e6, v118
	v_fma_f32 v107, v118, s8, -v107
	v_add_f32_e32 v29, v29, v121
	v_fmac_f32_e32 v119, 0xbee1c552, v30
	v_fmac_f32_e32 v108, 0xbee1c552, v30
	;; [unrolled: 1-line block ×3, first 2 shown]
	v_add_f32_e32 v30, v119, v29
	v_sub_f32_e32 v29, v29, v119
	v_lshrrev_b32_e32 v119, 2, v92
	v_mul_u32_u24_e32 v119, 28, v119
	v_or_b32_e32 v119, v119, v4
	v_add_f32_e32 v117, v117, v121
	v_add_f32_e32 v118, v120, v121
	v_lshl_add_u32 v128, v119, 2, 0
	ds_read_b32 v109, v100
	ds_read_b32 v127, v97
	v_sub_f32_e32 v120, v117, v108
	v_add_f32_e32 v108, v108, v117
	v_add_f32_e32 v117, v107, v118
	v_sub_f32_e32 v118, v118, v107
	v_add_f32_e32 v107, v32, v125
	s_waitcnt lgkmcnt(0)
	; wave barrier
	s_waitcnt lgkmcnt(0)
	ds_write2_b32 v128, v16, v6 offset1:4
	v_add_f32_e32 v16, v33, v61
	ds_write2_b32 v128, v17, v18 offset0:8 offset1:12
	v_add_f32_e32 v18, v35, v38
	ds_write2_b32 v128, v12, v13 offset0:16 offset1:20
	v_add_f32_e32 v12, v16, v107
	v_sub_f32_e32 v17, v36, v65
	v_sub_f32_e32 v13, v16, v107
	v_sub_f32_e32 v107, v107, v18
	v_sub_f32_e32 v16, v18, v16
	v_add_f32_e32 v12, v18, v12
	v_sub_f32_e32 v18, v60, v37
	v_sub_f32_e32 v6, v34, v126
	v_add_f32_e32 v119, v18, v17
	v_sub_f32_e32 v121, v18, v17
	v_sub_f32_e32 v18, v6, v18
	;; [unrolled: 1-line block ×3, first 2 shown]
	v_add_f32_e32 v6, v119, v6
	v_add_f32_e32 v119, v50, v12
	v_mov_b32_e32 v50, v119
	v_fmac_f32_e32 v50, 0xbf955555, v12
	v_mul_f32_e32 v12, 0x3f4a47b2, v107
	v_mul_f32_e32 v107, 0x3d64c772, v16
	v_fma_f32 v107, v13, s7, -v107
	v_fma_f32 v13, v13, s9, -v12
	v_fmac_f32_e32 v12, 0x3d64c772, v16
	v_mul_f32_e32 v16, 0x3f08b237, v121
	v_mul_f32_e32 v121, 0xbf5ff5aa, v17
	v_fma_f32 v17, v17, s6, -v16
	v_fmac_f32_e32 v16, 0xbeae86e6, v18
	v_fma_f32 v18, v18, s8, -v121
	v_add_f32_e32 v13, v13, v50
	v_fmac_f32_e32 v18, 0xbee1c552, v6
	v_add_f32_e32 v121, v18, v13
	v_sub_f32_e32 v13, v13, v18
	v_lshrrev_b32_e32 v18, 2, v93
	v_mul_lo_u32 v18, v18, 28
	ds_write_b32 v128, v5 offset:96
	v_add_f32_e32 v12, v12, v50
	v_add_f32_e32 v107, v107, v50
	v_or_b32_e32 v5, v18, v4
	v_lshl_add_u32 v50, v5, 2, 0
	v_lshrrev_b32_e32 v5, 2, v94
	v_mul_lo_u32 v5, v5, 28
	v_fmac_f32_e32 v16, 0xbee1c552, v6
	v_fmac_f32_e32 v17, 0xbee1c552, v6
	v_sub_f32_e32 v6, v107, v17
	v_or_b32_e32 v5, v5, v4
	v_lshl_add_u32 v129, v5, 2, 0
	v_lshrrev_b32_e32 v5, 2, v96
	v_mul_lo_u32 v5, v5, 28
	v_add_f32_e32 v17, v17, v107
	v_add_f32_e32 v122, v16, v12
	v_sub_f32_e32 v107, v12, v16
	v_or_b32_e32 v5, v5, v4
	v_lshl_add_u32 v130, v5, 2, 0
	v_lshrrev_b32_e32 v5, 2, v98
	v_mul_lo_u32 v5, v5, 28
	ds_write2_b32 v50, v24, v15 offset1:4
	ds_write2_b32 v50, v25, v26 offset0:8 offset1:12
	ds_write2_b32 v50, v19, v20 offset0:16 offset1:20
	ds_write_b32 v50, v14 offset:96
	ds_write2_b32 v129, v31, v23 offset1:4
	v_or_b32_e32 v4, v5, v4
	v_lshl_add_u32 v131, v4, 2, 0
	ds_write2_b32 v129, v106, v116 offset0:8 offset1:12
	ds_write2_b32 v129, v27, v28 offset0:16 offset1:20
	ds_write_b32 v129, v21 offset:96
	ds_write2_b32 v130, v105, v30 offset1:4
	ds_write2_b32 v130, v117, v120 offset0:8 offset1:12
	ds_write2_b32 v130, v108, v118 offset0:16 offset1:20
	ds_write_b32 v130, v29 offset:96
	ds_write2_b32 v131, v119, v122 offset1:4
	ds_write2_b32 v131, v121, v6 offset0:8 offset1:12
	ds_write2_b32 v131, v17, v13 offset0:16 offset1:20
	ds_write_b32 v131, v107 offset:96
	s_waitcnt lgkmcnt(0)
	; wave barrier
	s_waitcnt lgkmcnt(0)
	ds_read_b32 v116, v95
	ds_read2_b32 v[14:15], v7 offset0:84 offset1:140
	ds_read2_b32 v[12:13], v0 offset0:68 offset1:124
	ds_read2_b32 v[4:5], v0 offset0:180 offset1:236
	v_lshl_add_u32 v105, v101, 2, 0
	ds_read2_b32 v[6:7], v43 offset0:36 offset1:92
	v_lshl_add_u32 v106, v79, 2, 0
	ds_read_b32 v121, v102
	ds_read_b32 v120, v103
	;; [unrolled: 1-line block ×4, first 2 shown]
	v_lshl_add_u32 v0, v80, 2, 0
	ds_read_b32 v122, v104
	ds_read_b32 v119, v0
	ds_read2_b32 v[20:21], v43 offset0:148 offset1:204
	v_add_u32_e32 v133, 0x600, v95
	ds_read2_b32 v[18:19], v42 offset0:4 offset1:60
	ds_read2_b32 v[26:27], v41 offset0:104 offset1:160
	;; [unrolled: 1-line block ×3, first 2 shown]
	v_add_u32_e32 v132, 0xa00, v95
	v_add_u32_e32 v134, 0x1a00, v95
	ds_read2_b32 v[24:25], v22 offset0:72 offset1:128
	ds_read_b32 v123, v100
	ds_read_b32 v124, v97
	ds_read_b32 v108, v95 offset:7504
	ds_read2_b32 v[30:31], v133 offset0:120 offset1:176
	ds_read2_b32 v[28:29], v132 offset0:88 offset1:144
	;; [unrolled: 1-line block ×3, first 2 shown]
	s_and_saveexec_b64 s[2:3], s[0:1]
	s_cbranch_execz .LBB0_21
; %bb.20:
	ds_read_b32 v107, v95 offset:3808
	ds_read_b32 v1, v95 offset:7728
.LBB0_21:
	s_or_b64 exec, exec, s[2:3]
	v_add_f32_e32 v41, v114, v112
	v_add_f32_e32 v43, v110, v115
	v_sub_f32_e32 v42, v47, v58
	v_sub_f32_e32 v47, v48, v56
	v_add_f32_e32 v48, v113, v111
	v_sub_f32_e32 v51, v53, v51
	v_add_f32_e32 v53, v43, v41
	v_sub_f32_e32 v56, v43, v41
	v_sub_f32_e32 v41, v41, v48
	v_sub_f32_e32 v43, v48, v43
	v_add_f32_e32 v48, v48, v53
	v_add_f32_e32 v58, v51, v47
	v_sub_f32_e32 v110, v51, v47
	v_sub_f32_e32 v47, v47, v42
	v_add_f32_e32 v44, v44, v48
	v_sub_f32_e32 v51, v42, v51
	v_add_f32_e32 v42, v58, v42
	v_mul_f32_e32 v41, 0x3f4a47b2, v41
	v_mul_f32_e32 v53, 0x3d64c772, v43
	;; [unrolled: 1-line block ×4, first 2 shown]
	v_mov_b32_e32 v111, v44
	v_fmac_f32_e32 v111, 0xbf955555, v48
	v_fma_f32 v48, v56, s7, -v53
	v_fma_f32 v53, v56, s9, -v41
	v_fmac_f32_e32 v41, 0x3d64c772, v43
	v_fma_f32 v43, v47, s6, -v58
	v_fma_f32 v47, v51, s8, -v110
	v_fmac_f32_e32 v58, 0xbeae86e6, v51
	v_add_f32_e32 v48, v48, v111
	v_add_f32_e32 v51, v53, v111
	v_fmac_f32_e32 v43, 0xbee1c552, v42
	v_fmac_f32_e32 v47, 0xbee1c552, v42
	v_sub_f32_e32 v53, v51, v47
	v_add_f32_e32 v56, v43, v48
	v_sub_f32_e32 v43, v48, v43
	v_add_f32_e32 v47, v47, v51
	v_add_f32_e32 v48, v90, v88
	;; [unrolled: 1-line block ×3, first 2 shown]
	v_sub_f32_e32 v46, v46, v57
	v_add_f32_e32 v57, v89, v87
	v_sub_f32_e32 v49, v55, v49
	v_add_f32_e32 v55, v51, v48
	v_add_f32_e32 v41, v41, v111
	v_fmac_f32_e32 v58, 0xbee1c552, v42
	v_sub_f32_e32 v45, v45, v69
	v_add_f32_e32 v55, v57, v55
	v_sub_f32_e32 v42, v41, v58
	v_add_f32_e32 v41, v58, v41
	v_sub_f32_e32 v58, v51, v48
	v_sub_f32_e32 v48, v48, v57
	;; [unrolled: 1-line block ×3, first 2 shown]
	v_add_f32_e32 v69, v49, v46
	v_sub_f32_e32 v86, v49, v46
	v_sub_f32_e32 v46, v46, v45
	v_add_f32_e32 v57, v127, v55
	v_sub_f32_e32 v49, v45, v49
	v_add_f32_e32 v45, v69, v45
	v_mul_f32_e32 v48, 0x3f4a47b2, v48
	v_mul_f32_e32 v69, 0x3d64c772, v51
	v_mul_f32_e32 v86, 0x3f08b237, v86
	v_mul_f32_e32 v87, 0xbf5ff5aa, v46
	v_mov_b32_e32 v88, v57
	v_fmac_f32_e32 v88, 0xbf955555, v55
	v_fma_f32 v55, v58, s7, -v69
	v_fma_f32 v58, v58, s9, -v48
	;; [unrolled: 1-line block ×3, first 2 shown]
	v_fmac_f32_e32 v86, 0xbeae86e6, v49
	v_fma_f32 v49, v49, s8, -v87
	v_fmac_f32_e32 v48, 0x3d64c772, v51
	v_add_f32_e32 v51, v55, v88
	v_add_f32_e32 v55, v58, v88
	v_fmac_f32_e32 v46, 0xbee1c552, v45
	v_fmac_f32_e32 v49, 0xbee1c552, v45
	v_sub_f32_e32 v58, v55, v49
	v_add_f32_e32 v69, v46, v51
	v_sub_f32_e32 v46, v51, v46
	v_add_f32_e32 v49, v49, v55
	v_add_f32_e32 v51, v73, v85
	;; [unrolled: 1-line block ×5, first 2 shown]
	v_sub_f32_e32 v54, v54, v82
	v_sub_f32_e32 v59, v77, v59
	;; [unrolled: 1-line block ×5, first 2 shown]
	v_add_f32_e32 v73, v73, v74
	v_sub_f32_e32 v52, v52, v84
	v_add_f32_e32 v77, v59, v54
	v_sub_f32_e32 v81, v59, v54
	v_add_f32_e32 v74, v109, v73
	v_sub_f32_e32 v59, v52, v59
	v_sub_f32_e32 v54, v54, v52
	v_add_f32_e32 v52, v77, v52
	v_mul_f32_e32 v77, 0x3d64c772, v55
	v_mul_f32_e32 v81, 0x3f08b237, v81
	v_mov_b32_e32 v83, v74
	v_mul_f32_e32 v51, 0x3f4a47b2, v51
	v_mul_f32_e32 v82, 0xbf5ff5aa, v54
	v_fmac_f32_e32 v83, 0xbf955555, v73
	v_fma_f32 v73, v76, s7, -v77
	v_fma_f32 v54, v54, s6, -v81
	;; [unrolled: 1-line block ×3, first 2 shown]
	v_fmac_f32_e32 v51, 0x3d64c772, v55
	v_fmac_f32_e32 v81, 0xbeae86e6, v59
	v_fma_f32 v55, v59, s8, -v82
	v_add_f32_e32 v59, v73, v83
	v_fmac_f32_e32 v54, 0xbee1c552, v52
	v_add_f32_e32 v77, v54, v59
	v_sub_f32_e32 v54, v59, v54
	v_add_f32_e32 v59, v63, v78
	v_add_f32_e32 v63, v66, v72
	;; [unrolled: 1-line block ×4, first 2 shown]
	v_sub_f32_e32 v62, v62, v71
	v_sub_f32_e32 v64, v68, v64
	;; [unrolled: 1-line block ×5, first 2 shown]
	v_add_f32_e32 v66, v66, v67
	v_sub_f32_e32 v39, v39, v75
	v_add_f32_e32 v70, v64, v62
	v_sub_f32_e32 v71, v64, v62
	;; [unrolled: 2-line block ×3, first 2 shown]
	v_sub_f32_e32 v62, v62, v39
	v_add_f32_e32 v39, v70, v39
	v_mul_f32_e32 v67, 0x3d64c772, v63
	v_mul_f32_e32 v70, 0x3f08b237, v71
	v_mov_b32_e32 v72, v40
	v_add_f32_e32 v34, v34, v126
	v_add_f32_e32 v36, v36, v65
	v_mul_f32_e32 v59, 0x3f4a47b2, v59
	v_mul_f32_e32 v71, 0xbf5ff5aa, v62
	v_fmac_f32_e32 v72, 0xbf955555, v66
	v_fma_f32 v66, v68, s7, -v67
	v_fma_f32 v62, v62, s6, -v70
	v_add_f32_e32 v37, v37, v60
	v_sub_f32_e32 v35, v38, v35
	v_add_f32_e32 v38, v36, v34
	v_fma_f32 v67, v68, s9, -v59
	v_fmac_f32_e32 v59, 0x3d64c772, v63
	v_fmac_f32_e32 v70, 0xbeae86e6, v64
	v_fma_f32 v63, v64, s8, -v71
	v_add_f32_e32 v64, v66, v72
	v_fmac_f32_e32 v62, 0xbee1c552, v39
	v_sub_f32_e32 v33, v33, v61
	v_sub_f32_e32 v60, v36, v34
	;; [unrolled: 1-line block ×4, first 2 shown]
	v_add_f32_e32 v37, v37, v38
	v_add_f32_e32 v68, v62, v64
	v_sub_f32_e32 v62, v64, v62
	v_sub_f32_e32 v32, v32, v125
	v_add_f32_e32 v61, v35, v33
	v_sub_f32_e32 v64, v35, v33
	v_add_f32_e32 v2, v2, v37
	v_sub_f32_e32 v35, v32, v35
	v_sub_f32_e32 v33, v33, v32
	v_add_f32_e32 v32, v61, v32
	v_mul_f32_e32 v34, 0x3f4a47b2, v34
	v_mul_f32_e32 v38, 0x3d64c772, v36
	;; [unrolled: 1-line block ×3, first 2 shown]
	v_mov_b32_e32 v65, v2
	v_mul_f32_e32 v64, 0xbf5ff5aa, v33
	v_fmac_f32_e32 v65, 0xbf955555, v37
	v_fma_f32 v37, v60, s7, -v38
	v_fma_f32 v38, v60, s9, -v34
	v_fmac_f32_e32 v34, 0x3d64c772, v36
	v_fma_f32 v33, v33, s6, -v61
	v_fmac_f32_e32 v61, 0xbeae86e6, v35
	v_fma_f32 v35, v35, s8, -v64
	v_add_f32_e32 v34, v34, v65
	v_fmac_f32_e32 v61, 0xbee1c552, v32
	v_add_f32_e32 v48, v48, v88
	v_fmac_f32_e32 v86, 0xbee1c552, v45
	v_add_f32_e32 v51, v51, v83
	v_add_f32_e32 v73, v76, v83
	v_fmac_f32_e32 v81, 0xbee1c552, v52
	v_fmac_f32_e32 v55, 0xbee1c552, v52
	v_add_f32_e32 v59, v59, v72
	v_add_f32_e32 v66, v67, v72
	v_fmac_f32_e32 v70, 0xbee1c552, v39
	;; [unrolled: 4-line block ×3, first 2 shown]
	v_fmac_f32_e32 v35, 0xbee1c552, v32
	v_sub_f32_e32 v32, v34, v61
	v_sub_f32_e32 v45, v48, v86
	v_add_f32_e32 v48, v86, v48
	v_sub_f32_e32 v52, v51, v81
	v_sub_f32_e32 v76, v73, v55
	v_add_f32_e32 v55, v55, v73
	v_add_f32_e32 v51, v81, v51
	v_sub_f32_e32 v39, v59, v70
	v_sub_f32_e32 v67, v66, v63
	v_add_f32_e32 v63, v63, v66
	v_add_f32_e32 v59, v70, v59
	v_sub_f32_e32 v38, v37, v35
	v_add_f32_e32 v60, v33, v36
	v_sub_f32_e32 v33, v36, v33
	v_add_f32_e32 v35, v35, v37
	v_add_f32_e32 v109, v61, v34
	s_waitcnt lgkmcnt(0)
	; wave barrier
	s_waitcnt lgkmcnt(0)
	ds_write2_b32 v128, v44, v42 offset1:4
	ds_write2_b32 v128, v53, v56 offset0:8 offset1:12
	ds_write2_b32 v128, v43, v47 offset0:16 offset1:20
	ds_write_b32 v128, v41 offset:96
	ds_write2_b32 v50, v57, v45 offset1:4
	ds_write2_b32 v50, v58, v69 offset0:8 offset1:12
	ds_write2_b32 v50, v46, v49 offset0:16 offset1:20
	ds_write_b32 v50, v48 offset:96
	;; [unrolled: 4-line block ×5, first 2 shown]
	v_add_u32_e32 v32, 0xe00, v95
	s_waitcnt lgkmcnt(0)
	; wave barrier
	s_waitcnt lgkmcnt(0)
	ds_read2_b32 v[46:47], v32 offset0:84 offset1:140
	v_add_u32_e32 v32, 0x1000, v95
	ds_read_b32 v2, v95
	ds_read2_b32 v[48:49], v32 offset0:68 offset1:124
	ds_read2_b32 v[40:41], v32 offset0:180 offset1:236
	v_add_u32_e32 v32, 0x1400, v95
	ds_read2_b32 v[42:43], v32 offset0:36 offset1:92
	ds_read_b32 v125, v100
	ds_read_b32 v114, v102
	;; [unrolled: 1-line block ×7, first 2 shown]
	ds_read2_b32 v[54:55], v32 offset0:148 offset1:204
	ds_read2_b32 v[36:37], v133 offset0:120 offset1:176
	v_add_u32_e32 v32, 0x1800, v95
	v_add_u32_e32 v33, 0x800, v95
	ds_read2_b32 v[52:53], v32 offset0:4 offset1:60
	ds_read2_b32 v[38:39], v33 offset0:104 offset1:160
	;; [unrolled: 1-line block ×5, first 2 shown]
	v_add_u32_e32 v32, 0xc00, v95
	ds_read2_b32 v[32:33], v32 offset0:72 offset1:128
	ds_read_b32 v126, v97
	ds_read_b32 v127, v95 offset:7504
	s_and_saveexec_b64 s[2:3], s[0:1]
	s_cbranch_execz .LBB0_23
; %bb.22:
	ds_read_b32 v109, v95 offset:3808
	ds_read_b32 v3, v95 offset:7728
.LBB0_23:
	s_or_b64 exec, exec, s[2:3]
	v_subrev_u32_e32 v56, 28, v92
	v_cndmask_b32_e64 v128, v56, v92, s[0:1]
	v_mov_b32_e32 v129, 0
	v_lshlrev_b64 v[56:57], 3, v[128:129]
	v_mov_b32_e32 v58, s13
	v_add_co_u32_e64 v64, s[2:3], s12, v56
	v_addc_co_u32_e64 v65, s[2:3], v58, v57, s[2:3]
	v_lshrrev_b16_e32 v56, 2, v93
	v_lshrrev_b16_e32 v58, 2, v94
	v_and_b32_e32 v56, 63, v56
	v_and_b32_e32 v58, 63, v58
	v_mul_lo_u16_e32 v129, 37, v56
	v_mov_b32_e32 v56, 28
	v_mul_lo_u16_e32 v131, 37, v58
	v_mul_lo_u16_sdwa v58, v131, v56 dst_sel:DWORD dst_unused:UNUSED_PAD src0_sel:BYTE_1 src1_sel:DWORD
	v_sub_u16_e32 v132, v94, v58
	v_lshrrev_b16_e32 v58, 2, v96
	v_and_b32_e32 v58, 63, v58
	v_mul_lo_u16_e32 v133, 37, v58
	v_mul_lo_u16_sdwa v57, v129, v56 dst_sel:DWORD dst_unused:UNUSED_PAD src0_sel:BYTE_1 src1_sel:DWORD
	v_mul_lo_u16_sdwa v56, v133, v56 dst_sel:DWORD dst_unused:UNUSED_PAD src0_sel:BYTE_1 src1_sel:DWORD
	v_sub_u16_e32 v130, v93, v57
	v_mov_b32_e32 v57, 3
	v_sub_u16_e32 v134, v96, v56
	v_lshlrev_b32_sdwa v66, v57, v130 dst_sel:DWORD dst_unused:UNUSED_PAD src0_sel:DWORD src1_sel:BYTE_0
	v_lshlrev_b32_sdwa v67, v57, v132 dst_sel:DWORD dst_unused:UNUSED_PAD src0_sel:DWORD src1_sel:BYTE_0
	v_lshlrev_b32_sdwa v68, v57, v134 dst_sel:DWORD dst_unused:UNUSED_PAD src0_sel:DWORD src1_sel:BYTE_0
	global_load_dwordx2 v[62:63], v[64:65], off offset:192
	global_load_dwordx2 v[60:61], v66, s[12:13] offset:192
	global_load_dwordx2 v[58:59], v67, s[12:13] offset:192
	;; [unrolled: 1-line block ×3, first 2 shown]
	v_lshrrev_b16_e32 v64, 2, v98
	v_mul_u32_u24_e32 v64, 0x4925, v64
	v_lshrrev_b32_e32 v135, 17, v64
	v_mul_lo_u16_e32 v64, 28, v135
	v_sub_u16_e32 v136, v98, v64
	v_lshrrev_b16_e32 v64, 2, v99
	v_mul_u32_u24_e32 v64, 0x4925, v64
	v_lshrrev_b32_e32 v137, 17, v64
	v_mul_lo_u16_e32 v64, 28, v137
	v_sub_u16_e32 v138, v99, v64
	;; [unrolled: 5-line block ×3, first 2 shown]
	v_lshrrev_b16_e32 v64, 2, v79
	v_mul_u32_u24_e32 v64, 0x4925, v64
	v_lshrrev_b32_e32 v141, 17, v64
	v_mul_lo_u16_e32 v64, 28, v141
	v_lshlrev_b32_e32 v72, 3, v136
	v_lshlrev_b32_e32 v73, 3, v138
	v_sub_u16_e32 v142, v79, v64
	v_lshlrev_b32_e32 v74, 3, v140
	v_lshlrev_b32_e32 v75, 3, v142
	global_load_dwordx2 v[70:71], v72, s[12:13] offset:192
	global_load_dwordx2 v[68:69], v73, s[12:13] offset:192
	;; [unrolled: 1-line block ×4, first 2 shown]
	v_add_u16_e32 v73, 0x1f8, v92
	v_lshrrev_b16_e32 v74, 2, v73
	v_mul_u32_u24_e32 v74, 0x4925, v74
	v_lshrrev_b32_e32 v145, 17, v74
	v_mul_lo_u16_e32 v74, 28, v145
	v_sub_u16_e32 v146, v73, v74
	v_add_u16_e32 v74, 0x230, v92
	v_lshrrev_b16_e32 v75, 2, v74
	v_mul_u32_u24_e32 v75, 0x4925, v75
	v_lshrrev_b32_e32 v147, 17, v75
	v_mul_lo_u16_e32 v75, 28, v147
	v_sub_u16_e32 v148, v74, v75
	v_add_u16_e32 v75, 0x268, v92
	v_lshrrev_b16_e32 v72, 2, v80
	v_lshrrev_b16_e32 v76, 2, v75
	v_mul_u32_u24_e32 v72, 0x4925, v72
	v_mul_u32_u24_e32 v76, 0x4925, v76
	v_lshrrev_b32_e32 v143, 17, v72
	v_lshrrev_b32_e32 v149, 17, v76
	v_mul_lo_u16_e32 v72, 28, v143
	v_mul_lo_u16_e32 v76, 28, v149
	v_sub_u16_e32 v144, v80, v72
	v_sub_u16_e32 v150, v75, v76
	v_lshlrev_b32_e32 v72, 3, v144
	v_lshlrev_b32_e32 v74, 3, v148
	;; [unrolled: 1-line block ×4, first 2 shown]
	global_load_dwordx2 v[80:81], v72, s[12:13] offset:192
	global_load_dwordx2 v[78:79], v73, s[12:13] offset:192
	;; [unrolled: 1-line block ×3, first 2 shown]
	s_nop 0
	global_load_dwordx2 v[74:75], v75, s[12:13] offset:192
	v_add_u16_e32 v72, 0x2a0, v92
	v_lshrrev_b16_e32 v73, 2, v72
	v_mul_u32_u24_e32 v73, 0x4925, v73
	v_lshrrev_b32_e32 v151, 17, v73
	v_mul_lo_u16_e32 v73, 28, v151
	v_sub_u16_e32 v152, v72, v73
	v_add_u16_e32 v73, 0x2d8, v92
	v_lshrrev_b16_e32 v82, 2, v73
	v_mul_u32_u24_e32 v82, 0x4925, v82
	v_lshrrev_b32_e32 v153, 17, v82
	v_mul_lo_u16_e32 v82, 28, v153
	v_sub_u16_e32 v154, v73, v82
	v_add_u16_e32 v82, 0x310, v92
	v_lshrrev_b16_e32 v83, 2, v82
	v_mul_u32_u24_e32 v83, 0x4925, v83
	v_lshrrev_b32_e32 v155, 17, v83
	v_mul_lo_u16_e32 v83, 28, v155
	v_add_u16_e32 v87, 0x348, v92
	v_sub_u16_e32 v156, v82, v83
	v_lshrrev_b16_e32 v82, 2, v87
	v_mul_u32_u24_e32 v82, 0x4925, v82
	v_lshlrev_b32_e32 v72, 3, v152
	v_lshlrev_b32_e32 v73, 3, v154
	v_lshrrev_b32_e32 v157, 17, v82
	global_load_dwordx2 v[82:83], v72, s[12:13] offset:192
	global_load_dwordx2 v[84:85], v73, s[12:13] offset:192
	v_mul_lo_u16_e32 v72, 28, v157
	v_sub_u16_e32 v158, v87, v72
	v_lshlrev_b32_e32 v86, 3, v156
	v_lshlrev_b32_e32 v72, 3, v158
	global_load_dwordx2 v[86:87], v86, s[12:13] offset:192
	s_waitcnt vmcnt(14) lgkmcnt(14)
	v_mul_f32_e32 v161, v46, v63
	global_load_dwordx2 v[88:89], v72, s[12:13] offset:192
	v_or_b32_e32 v72, 0x380, v92
	v_lshrrev_b16_e32 v73, 2, v72
	v_mul_u32_u24_e32 v73, 0x4925, v73
	v_lshrrev_b32_e32 v159, 17, v73
	v_mul_lo_u16_e32 v73, 28, v159
	v_sub_u16_e32 v160, v72, v73
	v_lshlrev_b32_e32 v72, 3, v160
	global_load_dwordx2 v[90:91], v72, s[12:13] offset:192
	v_add_u16_e32 v72, 0x3b8, v92
	v_lshrrev_b16_e32 v73, 2, v72
	v_mul_u32_u24_e32 v73, 0x4925, v73
	v_lshrrev_b32_e32 v73, 17, v73
	v_mul_lo_u16_e32 v73, 28, v73
	v_sub_u16_e32 v177, v72, v73
	v_lshlrev_b32_e32 v72, 3, v177
	global_load_dwordx2 v[72:73], v72, s[12:13] offset:192
	v_fmac_f32_e32 v161, v14, v62
	s_waitcnt vmcnt(11)
	v_mul_f32_e32 v167, v42, v67
	s_waitcnt vmcnt(10)
	v_mul_f32_e32 v168, v43, v65
	v_fmac_f32_e32 v168, v7, v64
	v_sub_f32_e32 v161, v116, v161
	v_mul_f32_e32 v165, v40, v71
	v_fmac_f32_e32 v167, v6, v66
	v_fma_f32 v179, v116, 2.0, -v161
	v_sub_f32_e32 v168, v117, v168
	v_mov_b32_e32 v116, 0xe0
	v_cmp_lt_u32_e64 s[2:3], 27, v92
	v_fmac_f32_e32 v165, v4, v70
	v_sub_f32_e32 v167, v118, v167
	v_fma_f32 v182, v117, 2.0, -v168
	s_movk_i32 s6, 0xe0
	v_cndmask_b32_e64 v116, 0, v116, s[2:3]
	v_lshlrev_b32_e32 v117, 2, v128
	v_mul_f32_e32 v162, v47, v61
	v_mul_f32_e32 v163, v48, v59
	;; [unrolled: 1-line block ×3, first 2 shown]
	v_sub_f32_e32 v165, v120, v165
	v_fma_f32 v181, v118, 2.0, -v167
	v_add3_u32 v116, 0, v116, v117
	v_mul_u32_u24_sdwa v117, v129, s6 dst_sel:DWORD dst_unused:UNUSED_PAD src0_sel:BYTE_1 src1_sel:DWORD
	v_fmac_f32_e32 v162, v15, v60
	v_fmac_f32_e32 v163, v12, v58
	;; [unrolled: 1-line block ×3, first 2 shown]
	s_waitcnt vmcnt(9) lgkmcnt(9)
	v_mul_f32_e32 v169, v54, v81
	v_fmac_f32_e32 v169, v20, v80
	v_sub_f32_e32 v169, v119, v169
	v_fma_f32 v183, v119, 2.0, -v169
	v_mov_b32_e32 v119, 2
	v_lshlrev_b32_sdwa v118, v119, v130 dst_sel:DWORD dst_unused:UNUSED_PAD src0_sel:DWORD src1_sel:BYTE_0
	v_fma_f32 v180, v120, 2.0, -v165
	v_add3_u32 v117, 0, v117, v118
	v_mul_u32_u24_sdwa v118, v131, s6 dst_sel:DWORD dst_unused:UNUSED_PAD src0_sel:BYTE_1 src1_sel:DWORD
	v_lshlrev_b32_sdwa v120, v119, v132 dst_sel:DWORD dst_unused:UNUSED_PAD src0_sel:DWORD src1_sel:BYTE_0
	v_sub_f32_e32 v162, v124, v162
	v_sub_f32_e32 v163, v123, v163
	;; [unrolled: 1-line block ×3, first 2 shown]
	v_add3_u32 v118, 0, v118, v120
	v_mul_u32_u24_sdwa v120, v133, s6 dst_sel:DWORD dst_unused:UNUSED_PAD src0_sel:BYTE_1 src1_sel:DWORD
	v_lshlrev_b32_sdwa v119, v119, v134 dst_sel:DWORD dst_unused:UNUSED_PAD src0_sel:DWORD src1_sel:BYTE_0
	v_mul_f32_e32 v166, v41, v69
	v_fma_f32 v124, v124, 2.0, -v162
	v_fma_f32 v123, v123, 2.0, -v163
	;; [unrolled: 1-line block ×3, first 2 shown]
	v_add3_u32 v119, 0, v120, v119
	v_fmac_f32_e32 v166, v5, v68
	s_waitcnt lgkmcnt(0)
	; wave barrier
	s_waitcnt lgkmcnt(0)
	ds_write2_b32 v116, v179, v161 offset1:28
	ds_write2_b32 v117, v124, v162 offset1:28
	;; [unrolled: 1-line block ×4, first 2 shown]
	v_mul_u32_u24_e32 v120, 0xe0, v135
	v_lshlrev_b32_e32 v121, 2, v136
	v_sub_f32_e32 v166, v122, v166
	v_add3_u32 v120, 0, v120, v121
	v_mul_u32_u24_e32 v121, 0xe0, v137
	v_lshlrev_b32_e32 v123, 2, v138
	v_fma_f32 v122, v122, 2.0, -v166
	v_add3_u32 v121, 0, v121, v123
	ds_write2_b32 v120, v180, v165 offset1:28
	ds_write2_b32 v121, v122, v166 offset1:28
	v_mul_u32_u24_e32 v122, 0xe0, v139
	v_lshlrev_b32_e32 v123, 2, v140
	s_waitcnt vmcnt(8)
	v_mul_f32_e32 v170, v55, v79
	v_add3_u32 v122, 0, v122, v123
	v_mul_u32_u24_e32 v123, 0xe0, v141
	v_lshlrev_b32_e32 v124, 2, v142
	v_fmac_f32_e32 v170, v21, v78
	v_add3_u32 v123, 0, v123, v124
	v_mul_u32_u24_e32 v124, 0xe0, v143
	v_lshlrev_b32_e32 v128, 2, v144
	s_waitcnt vmcnt(7)
	v_mul_f32_e32 v171, v52, v77
	v_sub_f32_e32 v170, v30, v170
	v_add3_u32 v124, 0, v124, v128
	v_mul_u32_u24_e32 v128, 0xe0, v145
	v_lshlrev_b32_e32 v129, 2, v146
	v_fmac_f32_e32 v171, v18, v76
	v_fma_f32 v30, v30, 2.0, -v170
	v_add3_u32 v128, 0, v128, v129
	s_waitcnt vmcnt(6)
	v_mul_f32_e32 v172, v53, v75
	v_sub_f32_e32 v171, v31, v171
	ds_write2_b32 v122, v181, v167 offset1:28
	ds_write2_b32 v123, v182, v168 offset1:28
	;; [unrolled: 1-line block ×4, first 2 shown]
	v_mul_u32_u24_e32 v30, 0xe0, v147
	v_lshlrev_b32_e32 v129, 2, v148
	v_fmac_f32_e32 v172, v19, v74
	v_fma_f32 v31, v31, 2.0, -v171
	v_add3_u32 v129, 0, v30, v129
	s_waitcnt vmcnt(5)
	v_mul_f32_e32 v173, v50, v83
	v_sub_f32_e32 v172, v26, v172
	ds_write2_b32 v129, v31, v171 offset1:28
	v_mul_u32_u24_e32 v30, 0xe0, v149
	v_lshlrev_b32_e32 v31, 2, v150
	v_fmac_f32_e32 v173, v16, v82
	v_fma_f32 v26, v26, 2.0, -v172
	v_add3_u32 v130, 0, v30, v31
	v_sub_f32_e32 v173, v27, v173
	ds_write2_b32 v130, v26, v172 offset1:28
	v_mul_u32_u24_e32 v26, 0xe0, v151
	v_lshlrev_b32_e32 v30, 2, v152
	v_fma_f32 v27, v27, 2.0, -v173
	v_add3_u32 v131, 0, v26, v30
	s_waitcnt vmcnt(4)
	v_mul_f32_e32 v174, v51, v85
	s_waitcnt vmcnt(3)
	v_mul_f32_e32 v175, v44, v87
	;; [unrolled: 2-line block ×3, first 2 shown]
	ds_write2_b32 v131, v27, v173 offset1:28
	v_mul_u32_u24_e32 v26, 0xe0, v153
	v_lshlrev_b32_e32 v27, 2, v154
	v_fmac_f32_e32 v174, v17, v84
	v_fmac_f32_e32 v175, v22, v86
	;; [unrolled: 1-line block ×3, first 2 shown]
	v_add3_u32 v132, 0, v26, v27
	v_mul_u32_u24_e32 v26, 0xe0, v155
	v_lshlrev_b32_e32 v27, 2, v156
	s_waitcnt vmcnt(1)
	v_mul_f32_e32 v178, v127, v91
	v_sub_f32_e32 v174, v28, v174
	v_sub_f32_e32 v175, v29, v175
	;; [unrolled: 1-line block ×3, first 2 shown]
	v_add3_u32 v134, 0, v26, v27
	v_mul_u32_u24_e32 v26, 0xe0, v157
	v_lshlrev_b32_e32 v27, 2, v158
	v_fmac_f32_e32 v178, v108, v90
	v_fma_f32 v28, v28, 2.0, -v174
	v_fma_f32 v29, v29, 2.0, -v175
	;; [unrolled: 1-line block ×3, first 2 shown]
	v_add3_u32 v135, 0, v26, v27
	v_sub_f32_e32 v178, v25, v178
	ds_write2_b32 v132, v28, v174 offset1:28
	ds_write2_b32 v134, v29, v175 offset1:28
	;; [unrolled: 1-line block ×3, first 2 shown]
	v_mul_u32_u24_e32 v24, 0xe0, v159
	v_lshlrev_b32_e32 v26, 2, v160
	v_fma_f32 v25, v25, 2.0, -v178
	v_add3_u32 v136, 0, v24, v26
	v_lshl_add_u32 v133, v177, 2, 0
	ds_write2_b32 v136, v25, v178 offset1:28
	s_and_saveexec_b64 s[2:3], s[0:1]
	s_cbranch_execz .LBB0_25
; %bb.24:
	s_waitcnt vmcnt(0)
	v_mul_f32_e32 v24, v3, v73
	v_fmac_f32_e32 v24, v1, v72
	v_sub_f32_e32 v24, v107, v24
	v_fma_f32 v25, v107, 2.0, -v24
	v_add_u32_e32 v26, 0x1c00, v133
	ds_write2_b32 v26, v25, v24 offset0:112 offset1:140
.LBB0_25:
	s_or_b64 exec, exec, s[2:3]
	v_mul_f32_e32 v14, v14, v63
	v_mul_f32_e32 v21, v21, v79
	;; [unrolled: 1-line block ×5, first 2 shown]
	v_fma_f32 v14, v46, v62, -v14
	v_mul_f32_e32 v15, v15, v61
	v_fma_f32 v21, v55, v78, -v21
	v_fma_f32 v18, v52, v76, -v18
	;; [unrolled: 1-line block ×4, first 2 shown]
	v_mul_f32_e32 v17, v17, v85
	v_mul_f32_e32 v22, v22, v87
	;; [unrolled: 1-line block ×4, first 2 shown]
	v_fma_f32 v15, v47, v60, -v15
	v_mul_f32_e32 v12, v12, v59
	v_mul_f32_e32 v13, v13, v57
	;; [unrolled: 1-line block ×7, first 2 shown]
	v_fma_f32 v17, v51, v84, -v17
	v_fma_f32 v22, v44, v86, -v22
	;; [unrolled: 1-line block ×4, first 2 shown]
	v_sub_f32_e32 v47, v2, v14
	v_sub_f32_e32 v69, v36, v21
	;; [unrolled: 1-line block ×5, first 2 shown]
	v_fma_f32 v12, v48, v58, -v12
	v_fma_f32 v13, v49, v56, -v13
	;; [unrolled: 1-line block ×7, first 2 shown]
	v_fma_f32 v52, v2, 2.0, -v47
	v_fma_f32 v70, v36, 2.0, -v69
	;; [unrolled: 1-line block ×5, first 2 shown]
	v_sub_f32_e32 v79, v34, v17
	v_sub_f32_e32 v81, v35, v22
	;; [unrolled: 1-line block ×4, first 2 shown]
	v_add_u32_e32 v2, 0x800, v95
	v_add_u32_e32 v38, 0xc00, v95
	;; [unrolled: 1-line block ×9, first 2 shown]
	v_sub_f32_e32 v53, v126, v15
	v_sub_f32_e32 v55, v125, v12
	;; [unrolled: 1-line block ×8, first 2 shown]
	v_fma_f32 v80, v34, 2.0, -v79
	v_fma_f32 v82, v35, 2.0, -v81
	;; [unrolled: 1-line block ×4, first 2 shown]
	s_waitcnt lgkmcnt(0)
	; wave barrier
	s_waitcnt lgkmcnt(0)
	ds_read_b32 v49, v95
	ds_read2_b32 v[34:35], v2 offset0:48 offset1:104
	ds_read2_b32 v[6:7], v38 offset0:16 offset1:72
	;; [unrolled: 1-line block ×10, first 2 shown]
	ds_read2_b32 v[18:19], v39 offset1:56
	ds_read_b32 v46, v100
	ds_read_b32 v43, v102
	ds_read2_b32 v[16:17], v40 offset0:192 offset1:248
	ds_read2_b32 v[14:15], v44 offset0:112 offset1:168
	;; [unrolled: 1-line block ×3, first 2 shown]
	ds_read_b32 v51, v104
	ds_read_b32 v42, v103
	;; [unrolled: 1-line block ×3, first 2 shown]
	ds_read_b32 v50, v95 offset:7616
	v_fma_f32 v54, v126, 2.0, -v53
	v_fma_f32 v56, v125, 2.0, -v55
	;; [unrolled: 1-line block ×8, first 2 shown]
	s_waitcnt lgkmcnt(0)
	; wave barrier
	s_waitcnt lgkmcnt(0)
	ds_write2_b32 v116, v52, v47 offset1:28
	ds_write2_b32 v117, v54, v53 offset1:28
	;; [unrolled: 1-line block ×17, first 2 shown]
	s_and_saveexec_b64 s[2:3], s[0:1]
	s_cbranch_execz .LBB0_27
; %bb.26:
	s_waitcnt vmcnt(0)
	v_mul_f32_e32 v1, v1, v73
	v_fma_f32 v1, v3, v72, -v1
	v_sub_f32_e32 v1, v109, v1
	v_fma_f32 v3, v109, 2.0, -v1
	v_add_u32_e32 v47, 0x1c00, v133
	ds_write2_b32 v47, v3, v1 offset0:112 offset1:140
.LBB0_27:
	s_or_b64 exec, exec, s[2:3]
	v_mul_u32_u24_e32 v1, 6, v92
	v_lshlrev_b32_e32 v1, 3, v1
	s_waitcnt lgkmcnt(0)
	; wave barrier
	s_waitcnt lgkmcnt(0)
	global_load_dwordx4 v[52:55], v1, s[12:13] offset:416
	global_load_dwordx4 v[56:59], v1, s[12:13] offset:432
	;; [unrolled: 1-line block ×3, first 2 shown]
	v_lshrrev_b16_e32 v1, 3, v94
	v_and_b32_e32 v1, 31, v1
	ds_read_b32 v142, v95
	ds_read2_b32 v[114:115], v2 offset0:48 offset1:104
	ds_read2_b32 v[116:117], v38 offset0:16 offset1:72
	;; [unrolled: 1-line block ×10, first 2 shown]
	ds_read2_b32 v[134:135], v39 offset1:56
	v_mov_b32_e32 v45, 56
	v_mul_lo_u16_e32 v1, 37, v1
	v_mul_lo_u16_sdwa v1, v1, v45 dst_sel:DWORD dst_unused:UNUSED_PAD src0_sel:BYTE_1 src1_sel:DWORD
	v_sub_u16_e32 v1, v94, v1
	v_and_b32_e32 v1, 0xff, v1
	v_mul_u32_u24_e32 v3, 6, v1
	v_lshlrev_b32_e32 v3, 3, v3
	global_load_dwordx4 v[64:67], v3, s[12:13] offset:416
	ds_read_b32 v143, v100
	ds_read_b32 v47, v102
	ds_read2_b32 v[136:137], v40 offset0:192 offset1:248
	ds_read2_b32 v[138:139], v44 offset0:112 offset1:168
	;; [unrolled: 1-line block ×3, first 2 shown]
	v_lshrrev_b16_e32 v44, 3, v96
	v_and_b32_e32 v44, 31, v44
	v_mul_lo_u16_e32 v44, 37, v44
	v_lshrrev_b16_e32 v76, 3, v98
	v_mul_lo_u16_sdwa v44, v44, v45 dst_sel:DWORD dst_unused:UNUSED_PAD src0_sel:BYTE_1 src1_sel:DWORD
	v_mul_u32_u24_e32 v76, 0x2493, v76
	v_sub_u16_e32 v44, v96, v44
	v_mul_lo_u16_sdwa v84, v76, v45 dst_sel:DWORD dst_unused:UNUSED_PAD src0_sel:WORD_1 src1_sel:DWORD
	v_and_b32_e32 v45, 0xff, v44
	v_mul_u32_u24_e32 v44, 6, v45
	v_lshlrev_b32_e32 v85, 3, v44
	global_load_dwordx4 v[68:71], v3, s[12:13] offset:448
	global_load_dwordx4 v[72:75], v3, s[12:13] offset:432
	ds_read_b32 v107, v104
	ds_read_b32 v3, v103
	;; [unrolled: 1-line block ×3, first 2 shown]
	ds_read_b32 v145, v95 offset:7616
	global_load_dwordx4 v[76:79], v85, s[12:13] offset:432
	global_load_dwordx4 v[80:83], v85, s[12:13] offset:416
	v_sub_u16_e32 v44, v98, v84
	v_mul_u32_u24_e32 v84, 6, v44
	v_lshlrev_b32_e32 v111, 3, v84
	global_load_dwordx4 v[84:87], v85, s[12:13] offset:448
	s_nop 0
	global_load_dwordx4 v[88:91], v111, s[12:13] offset:416
	s_mov_b32 s0, 0xbf5ff5aa
	s_mov_b32 s2, 0x3f3bfb3b
	s_mov_b32 s1, 0xbf3bfb3b
	s_mov_b32 s3, 0x3eae86e6
	v_lshl_add_u32 v1, v1, 2, 0
	v_lshl_add_u32 v44, v44, 2, 0
	s_waitcnt vmcnt(9) lgkmcnt(3)
	v_mul_f32_e32 v146, v107, v53
	v_mul_f32_e32 v108, v51, v53
	;; [unrolled: 1-line block ×4, first 2 shown]
	s_waitcnt vmcnt(8)
	v_mul_f32_e32 v148, v117, v57
	v_mul_f32_e32 v110, v7, v57
	;; [unrolled: 1-line block ×4, first 2 shown]
	s_waitcnt vmcnt(7)
	v_mul_f32_e32 v150, v121, v61
	v_mul_f32_e32 v113, v5, v61
	v_fmac_f32_e32 v146, v51, v52
	v_fma_f32 v51, v107, v52, -v108
	v_fmac_f32_e32 v147, v34, v54
	v_fma_f32 v34, v114, v54, -v109
	;; [unrolled: 2-line block ×5, first 2 shown]
	global_load_dwordx4 v[107:110], v111, s[12:13] offset:448
	s_nop 0
	global_load_dwordx4 v[111:114], v111, s[12:13] offset:432
	v_mul_f32_e32 v153, v124, v53
	v_fmac_f32_e32 v153, v28, v52
	v_mul_f32_e32 v28, v28, v53
	v_fma_f32 v28, v124, v52, -v28
	v_mul_f32_e32 v52, v115, v55
	v_fmac_f32_e32 v52, v35, v54
	v_mul_f32_e32 v35, v35, v55
	v_fma_f32 v35, v115, v54, -v35
	v_mul_f32_e32 v54, v119, v59
	v_mul_f32_e32 v53, v126, v57
	v_fmac_f32_e32 v54, v33, v58
	v_mul_f32_e32 v33, v33, v59
	v_fmac_f32_e32 v53, v26, v56
	v_mul_f32_e32 v26, v26, v57
	v_fma_f32 v33, v119, v58, -v33
	v_mul_f32_e32 v55, v128, v61
	s_waitcnt vmcnt(8)
	v_mul_f32_e32 v57, v125, v65
	v_mul_f32_e32 v58, v130, v67
	;; [unrolled: 1-line block ×4, first 2 shown]
	v_fma_f32 v26, v126, v56, -v26
	v_fmac_f32_e32 v55, v24, v60
	v_mul_f32_e32 v24, v24, v61
	v_mul_f32_e32 v56, v123, v63
	v_fmac_f32_e32 v57, v29, v64
	v_mul_f32_e32 v29, v29, v65
	v_fmac_f32_e32 v58, v22, v66
	v_mul_f32_e32 v22, v22, v67
	s_waitcnt vmcnt(5)
	v_mul_f32_e32 v65, v138, v77
	v_fmac_f32_e32 v151, v30, v62
	v_fma_f32 v30, v122, v62, -v152
	v_fma_f32 v24, v128, v60, -v24
	v_fmac_f32_e32 v56, v31, v62
	v_mul_f32_e32 v31, v31, v63
	v_fma_f32 v22, v130, v66, -v22
	v_mul_f32_e32 v60, v132, v75
	s_waitcnt vmcnt(4)
	v_mul_f32_e32 v63, v136, v81
	v_fmac_f32_e32 v65, v14, v76
	v_mul_f32_e32 v14, v14, v77
	v_mul_f32_e32 v66, v133, v79
	v_fma_f32 v31, v123, v62, -v31
	v_fma_f32 v29, v125, v64, -v29
	v_fmac_f32_e32 v60, v20, v74
	v_mul_f32_e32 v20, v20, v75
	v_mul_f32_e32 v61, v129, v69
	;; [unrolled: 1-line block ×3, first 2 shown]
	v_fmac_f32_e32 v63, v16, v80
	v_mul_f32_e32 v16, v16, v81
	v_mul_f32_e32 v64, v131, v83
	v_fma_f32 v14, v138, v76, -v14
	v_fmac_f32_e32 v66, v21, v78
	v_mul_f32_e32 v21, v21, v79
	v_add_f32_e32 v75, v146, v151
	v_add_f32_e32 v76, v51, v30
	v_sub_f32_e32 v30, v51, v30
	v_add_f32_e32 v51, v147, v150
	v_fmac_f32_e32 v61, v25, v68
	v_mul_f32_e32 v25, v25, v69
	v_fmac_f32_e32 v62, v18, v70
	v_mul_f32_e32 v18, v18, v71
	v_fma_f32 v16, v136, v80, -v16
	v_fmac_f32_e32 v64, v23, v82
	v_mul_f32_e32 v23, v23, v83
	v_fma_f32 v21, v133, v78, -v21
	v_add_f32_e32 v78, v34, v5
	v_sub_f32_e32 v5, v34, v5
	v_add_f32_e32 v34, v148, v149
	v_add_f32_e32 v80, v7, v32
	v_sub_f32_e32 v7, v32, v7
	v_add_f32_e32 v32, v51, v75
	v_fma_f32 v25, v129, v68, -v25
	v_fma_f32 v18, v134, v70, -v18
	;; [unrolled: 1-line block ×3, first 2 shown]
	s_waitcnt vmcnt(3)
	v_mul_f32_e32 v67, v140, v85
	v_mul_f32_e32 v68, v135, v87
	s_waitcnt vmcnt(2)
	v_mul_f32_e32 v69, v137, v89
	v_mul_f32_e32 v70, v116, v91
	v_add_f32_e32 v82, v78, v76
	v_add_f32_e32 v32, v34, v32
	v_fmac_f32_e32 v67, v12, v84
	v_mul_f32_e32 v12, v12, v85
	v_fmac_f32_e32 v68, v19, v86
	v_mul_f32_e32 v19, v19, v87
	;; [unrolled: 2-line block ×4, first 2 shown]
	v_sub_f32_e32 v77, v146, v151
	v_sub_f32_e32 v79, v147, v150
	;; [unrolled: 1-line block ×6, first 2 shown]
	v_add_f32_e32 v34, v80, v82
	v_add_f32_e32 v49, v49, v32
	v_fma_f32 v12, v140, v84, -v12
	v_fma_f32 v19, v135, v86, -v19
	;; [unrolled: 1-line block ×4, first 2 shown]
	v_sub_f32_e32 v84, v78, v76
	v_sub_f32_e32 v76, v76, v80
	;; [unrolled: 1-line block ×3, first 2 shown]
	v_add_f32_e32 v85, v81, v79
	v_add_f32_e32 v86, v7, v5
	v_sub_f32_e32 v87, v81, v79
	v_sub_f32_e32 v88, v7, v5
	;; [unrolled: 1-line block ×3, first 2 shown]
	v_add_f32_e32 v80, v142, v34
	v_mov_b32_e32 v90, v49
	v_sub_f32_e32 v81, v77, v81
	v_sub_f32_e32 v7, v30, v7
	;; [unrolled: 1-line block ×3, first 2 shown]
	v_add_f32_e32 v77, v85, v77
	v_add_f32_e32 v30, v86, v30
	v_mul_f32_e32 v75, 0x3f4a47b2, v75
	v_mul_f32_e32 v76, 0x3f4a47b2, v76
	;; [unrolled: 1-line block ×7, first 2 shown]
	v_fmac_f32_e32 v90, 0xbf955555, v32
	v_mov_b32_e32 v32, v80
	v_mul_f32_e32 v89, 0xbf5ff5aa, v5
	v_fmac_f32_e32 v32, 0xbf955555, v34
	v_fma_f32 v34, v83, s2, -v82
	v_fma_f32 v82, v84, s2, -v85
	;; [unrolled: 1-line block ×3, first 2 shown]
	v_fmac_f32_e32 v75, 0x3d64c772, v51
	v_fma_f32 v51, v84, s1, -v76
	v_fmac_f32_e32 v76, 0x3d64c772, v78
	v_fma_f32 v78, v79, s0, -v86
	;; [unrolled: 2-line block ×4, first 2 shown]
	v_fma_f32 v7, v7, s3, -v89
	v_add_f32_e32 v75, v75, v90
	v_add_f32_e32 v76, v76, v32
	;; [unrolled: 1-line block ×5, first 2 shown]
	v_fmac_f32_e32 v86, 0xbee1c552, v77
	v_fmac_f32_e32 v87, 0xbee1c552, v30
	;; [unrolled: 1-line block ×4, first 2 shown]
	v_add_f32_e32 v82, v83, v90
	v_fmac_f32_e32 v78, 0xbee1c552, v77
	v_fmac_f32_e32 v7, 0xbee1c552, v30
	v_add_f32_e32 v30, v87, v75
	v_sub_f32_e32 v77, v76, v86
	v_sub_f32_e32 v83, v32, v79
	v_sub_f32_e32 v84, v34, v5
	v_add_f32_e32 v5, v5, v34
	v_add_f32_e32 v32, v79, v32
	v_sub_f32_e32 v34, v75, v87
	v_add_f32_e32 v75, v86, v76
	v_add_f32_e32 v76, v153, v56
	;; [unrolled: 1-line block ×3, first 2 shown]
	v_sub_f32_e32 v28, v28, v31
	v_add_f32_e32 v31, v52, v55
	v_mul_f32_e32 v59, v127, v73
	v_add_f32_e32 v85, v78, v81
	v_sub_f32_e32 v78, v81, v78
	v_add_f32_e32 v81, v35, v24
	v_sub_f32_e32 v52, v52, v55
	v_sub_f32_e32 v24, v35, v24
	v_add_f32_e32 v35, v53, v54
	v_add_f32_e32 v55, v26, v33
	v_sub_f32_e32 v26, v33, v26
	v_add_f32_e32 v33, v31, v76
	v_fmac_f32_e32 v59, v27, v72
	v_mul_f32_e32 v27, v27, v73
	s_waitcnt vmcnt(1)
	v_mul_f32_e32 v73, v141, v108
	v_sub_f32_e32 v53, v54, v53
	v_add_f32_e32 v54, v81, v79
	v_add_f32_e32 v33, v35, v33
	v_fmac_f32_e32 v73, v13, v107
	v_mul_f32_e32 v13, v13, v108
	v_add_f32_e32 v51, v7, v82
	v_sub_f32_e32 v7, v82, v7
	v_sub_f32_e32 v82, v31, v76
	;; [unrolled: 1-line block ×4, first 2 shown]
	v_add_f32_e32 v35, v55, v54
	v_add_f32_e32 v48, v48, v33
	v_fma_f32 v13, v141, v107, -v13
	v_sub_f32_e32 v56, v153, v56
	v_sub_f32_e32 v86, v81, v79
	v_sub_f32_e32 v79, v79, v55
	v_sub_f32_e32 v81, v55, v81
	v_add_f32_e32 v87, v53, v52
	v_add_f32_e32 v88, v26, v24
	v_sub_f32_e32 v89, v53, v52
	v_sub_f32_e32 v90, v26, v24
	s_waitcnt lgkmcnt(1)
	v_add_f32_e32 v55, v144, v35
	v_mov_b32_e32 v107, v48
	v_sub_f32_e32 v53, v56, v53
	v_sub_f32_e32 v26, v28, v26
	;; [unrolled: 1-line block ×4, first 2 shown]
	v_add_f32_e32 v54, v87, v56
	v_add_f32_e32 v28, v88, v28
	v_mul_f32_e32 v56, 0x3f4a47b2, v76
	v_mul_f32_e32 v76, 0x3f4a47b2, v79
	v_mul_f32_e32 v79, 0x3d64c772, v31
	v_mul_f32_e32 v87, 0x3d64c772, v81
	v_mul_f32_e32 v88, 0x3f08b237, v89
	v_mul_f32_e32 v89, 0x3f08b237, v90
	v_fmac_f32_e32 v107, 0xbf955555, v33
	v_mov_b32_e32 v33, v55
	v_mul_f32_e32 v90, 0xbf5ff5aa, v52
	v_mul_f32_e32 v91, 0xbf5ff5aa, v24
	v_fmac_f32_e32 v33, 0xbf955555, v35
	v_fma_f32 v35, v82, s2, -v79
	v_fma_f32 v79, v86, s2, -v87
	;; [unrolled: 1-line block ×5, first 2 shown]
	v_fmac_f32_e32 v56, 0x3d64c772, v31
	v_fma_f32 v31, v86, s1, -v76
	v_fmac_f32_e32 v88, 0xbeae86e6, v53
	v_fmac_f32_e32 v89, 0xbeae86e6, v26
	v_fma_f32 v53, v53, s3, -v90
	v_fma_f32 v26, v26, s3, -v91
	v_add_f32_e32 v35, v35, v107
	v_add_f32_e32 v79, v79, v33
	v_fmac_f32_e32 v52, 0xbee1c552, v54
	v_fmac_f32_e32 v24, 0xbee1c552, v28
	v_fma_f32 v27, v127, v72, -v27
	v_fma_f32 v20, v132, v74, -v20
	v_fmac_f32_e32 v76, 0x3d64c772, v81
	v_add_f32_e32 v81, v82, v107
	v_add_f32_e32 v31, v31, v33
	v_fmac_f32_e32 v53, 0xbee1c552, v54
	v_fmac_f32_e32 v26, 0xbee1c552, v28
	v_sub_f32_e32 v86, v35, v24
	v_add_f32_e32 v87, v52, v79
	v_add_f32_e32 v24, v24, v35
	v_sub_f32_e32 v79, v79, v52
	v_add_f32_e32 v35, v57, v62
	v_add_f32_e32 v52, v29, v18
	v_sub_f32_e32 v18, v29, v18
	v_add_f32_e32 v29, v58, v61
	v_fmac_f32_e32 v88, 0xbee1c552, v54
	v_add_f32_e32 v54, v26, v81
	v_sub_f32_e32 v82, v31, v53
	v_sub_f32_e32 v26, v81, v26
	v_add_f32_e32 v81, v53, v31
	v_sub_f32_e32 v53, v57, v62
	v_add_f32_e32 v57, v22, v25
	v_sub_f32_e32 v58, v58, v61
	v_sub_f32_e32 v22, v22, v25
	v_add_f32_e32 v25, v59, v60
	v_add_f32_e32 v61, v27, v20
	v_sub_f32_e32 v20, v20, v27
	v_add_f32_e32 v27, v29, v35
	v_sub_f32_e32 v59, v60, v59
	;; [unrolled: 2-line block ×3, first 2 shown]
	v_sub_f32_e32 v35, v35, v25
	v_sub_f32_e32 v29, v25, v29
	v_add_f32_e32 v25, v25, v27
	v_add_f32_e32 v56, v56, v107
	;; [unrolled: 1-line block ×3, first 2 shown]
	v_fmac_f32_e32 v89, 0xbee1c552, v28
	v_add_f32_e32 v27, v61, v60
	v_add_f32_e32 v46, v46, v25
	;; [unrolled: 1-line block ×3, first 2 shown]
	v_sub_f32_e32 v33, v76, v88
	v_sub_f32_e32 v31, v56, v89
	v_add_f32_e32 v56, v88, v76
	v_sub_f32_e32 v76, v57, v52
	v_sub_f32_e32 v52, v52, v61
	v_sub_f32_e32 v57, v61, v57
	v_add_f32_e32 v88, v59, v58
	v_add_f32_e32 v89, v20, v22
	v_sub_f32_e32 v90, v59, v58
	v_sub_f32_e32 v91, v20, v22
	;; [unrolled: 1-line block ×3, first 2 shown]
	v_add_f32_e32 v60, v143, v27
	v_mov_b32_e32 v108, v46
	v_sub_f32_e32 v59, v53, v59
	v_sub_f32_e32 v20, v18, v20
	;; [unrolled: 1-line block ×3, first 2 shown]
	v_add_f32_e32 v53, v88, v53
	v_add_f32_e32 v18, v89, v18
	v_mul_f32_e32 v35, 0x3f4a47b2, v35
	v_mul_f32_e32 v52, 0x3f4a47b2, v52
	;; [unrolled: 1-line block ×7, first 2 shown]
	v_fmac_f32_e32 v108, 0xbf955555, v25
	v_mov_b32_e32 v25, v60
	v_mul_f32_e32 v107, 0xbf5ff5aa, v22
	v_fmac_f32_e32 v25, 0xbf955555, v27
	v_fma_f32 v27, v62, s2, -v61
	v_fma_f32 v61, v76, s2, -v88
	;; [unrolled: 1-line block ×3, first 2 shown]
	v_fmac_f32_e32 v35, 0x3d64c772, v29
	v_fma_f32 v29, v76, s1, -v52
	v_fmac_f32_e32 v52, 0x3d64c772, v57
	v_fma_f32 v57, v58, s0, -v89
	;; [unrolled: 2-line block ×3, first 2 shown]
	v_fma_f32 v58, v59, s3, -v91
	v_fmac_f32_e32 v90, 0xbeae86e6, v20
	v_fma_f32 v20, v20, s3, -v107
	v_add_f32_e32 v52, v52, v25
	v_add_f32_e32 v27, v27, v108
	;; [unrolled: 1-line block ×4, first 2 shown]
	v_fmac_f32_e32 v89, 0xbee1c552, v53
	v_fmac_f32_e32 v57, 0xbee1c552, v53
	;; [unrolled: 1-line block ×4, first 2 shown]
	v_add_f32_e32 v61, v62, v108
	v_fmac_f32_e32 v20, 0xbee1c552, v18
	v_sub_f32_e32 v29, v52, v89
	v_sub_f32_e32 v62, v25, v58
	;; [unrolled: 1-line block ×3, first 2 shown]
	v_add_f32_e32 v88, v57, v59
	v_add_f32_e32 v22, v22, v27
	v_sub_f32_e32 v27, v59, v57
	v_add_f32_e32 v25, v58, v25
	v_add_f32_e32 v58, v89, v52
	;; [unrolled: 1-line block ×4, first 2 shown]
	v_sub_f32_e32 v16, v16, v19
	v_add_f32_e32 v19, v64, v67
	v_add_f32_e32 v53, v20, v61
	v_sub_f32_e32 v20, v61, v20
	v_sub_f32_e32 v59, v63, v68
	v_add_f32_e32 v61, v23, v12
	v_sub_f32_e32 v63, v64, v67
	v_sub_f32_e32 v12, v23, v12
	v_add_f32_e32 v23, v65, v66
	v_add_f32_e32 v64, v14, v21
	v_sub_f32_e32 v14, v21, v14
	v_add_f32_e32 v21, v19, v52
	v_sub_f32_e32 v65, v66, v65
	v_add_f32_e32 v66, v61, v57
	v_add_f32_e32 v21, v23, v21
	;; [unrolled: 1-line block ×3, first 2 shown]
	v_fmac_f32_e32 v90, 0xbee1c552, v18
	v_sub_f32_e32 v67, v19, v52
	v_sub_f32_e32 v52, v52, v23
	;; [unrolled: 1-line block ×3, first 2 shown]
	v_add_f32_e32 v23, v64, v66
	v_add_f32_e32 v43, v43, v21
	;; [unrolled: 1-line block ×3, first 2 shown]
	v_sub_f32_e32 v35, v35, v90
	v_sub_f32_e32 v68, v61, v57
	;; [unrolled: 1-line block ×4, first 2 shown]
	v_add_f32_e32 v89, v65, v63
	v_add_f32_e32 v90, v14, v12
	v_sub_f32_e32 v91, v65, v63
	v_sub_f32_e32 v107, v14, v12
	;; [unrolled: 1-line block ×4, first 2 shown]
	v_add_f32_e32 v47, v47, v23
	v_mov_b32_e32 v108, v43
	s_waitcnt lgkmcnt(0)
	v_mul_f32_e32 v74, v145, v110
	v_sub_f32_e32 v65, v59, v65
	v_sub_f32_e32 v14, v16, v14
	v_add_f32_e32 v59, v89, v59
	v_add_f32_e32 v16, v90, v16
	v_mul_f32_e32 v52, 0x3f4a47b2, v52
	v_mul_f32_e32 v57, 0x3f4a47b2, v57
	;; [unrolled: 1-line block ×8, first 2 shown]
	v_fmac_f32_e32 v108, 0xbf955555, v21
	v_mov_b32_e32 v21, v47
	s_waitcnt vmcnt(0)
	v_mul_f32_e32 v71, v139, v112
	v_mul_f32_e32 v72, v120, v114
	v_fmac_f32_e32 v74, v50, v109
	v_mul_f32_e32 v50, v50, v110
	v_fmac_f32_e32 v21, 0xbf955555, v23
	v_fma_f32 v23, v67, s2, -v64
	v_fma_f32 v64, v68, s2, -v66
	;; [unrolled: 1-line block ×3, first 2 shown]
	v_fmac_f32_e32 v52, 0x3d64c772, v19
	v_fma_f32 v19, v68, s1, -v57
	v_fmac_f32_e32 v57, 0x3d64c772, v61
	v_fma_f32 v61, v63, s0, -v89
	v_fma_f32 v12, v12, s0, -v90
	v_fmac_f32_e32 v90, 0xbeae86e6, v14
	v_fma_f32 v63, v65, s3, -v91
	v_fma_f32 v14, v14, s3, -v107
	v_fmac_f32_e32 v71, v15, v111
	v_mul_f32_e32 v15, v15, v112
	v_fmac_f32_e32 v72, v4, v113
	v_mul_f32_e32 v4, v4, v114
	v_fma_f32 v50, v145, v109, -v50
	v_fmac_f32_e32 v89, 0xbeae86e6, v65
	v_add_f32_e32 v52, v52, v108
	v_add_f32_e32 v23, v23, v108
	;; [unrolled: 1-line block ×4, first 2 shown]
	v_fmac_f32_e32 v90, 0xbee1c552, v16
	v_fmac_f32_e32 v12, 0xbee1c552, v16
	;; [unrolled: 1-line block ×4, first 2 shown]
	v_fma_f32 v15, v139, v111, -v15
	v_fma_f32 v4, v120, v113, -v4
	v_add_f32_e32 v57, v57, v21
	v_add_f32_e32 v64, v64, v21
	v_fmac_f32_e32 v89, 0xbee1c552, v59
	v_fmac_f32_e32 v61, 0xbee1c552, v59
	v_add_f32_e32 v16, v90, v52
	v_add_f32_e32 v21, v14, v65
	v_sub_f32_e32 v66, v19, v63
	v_sub_f32_e32 v67, v23, v12
	v_add_f32_e32 v12, v12, v23
	v_sub_f32_e32 v14, v65, v14
	v_add_f32_e32 v65, v63, v19
	;; [unrolled: 2-line block ×3, first 2 shown]
	v_add_f32_e32 v52, v17, v50
	v_sub_f32_e32 v17, v17, v50
	v_add_f32_e32 v50, v70, v73
	v_sub_f32_e32 v59, v57, v89
	;; [unrolled: 2-line block ×5, first 2 shown]
	v_add_f32_e32 v13, v71, v72
	v_add_f32_e32 v69, v15, v4
	v_sub_f32_e32 v4, v4, v15
	v_add_f32_e32 v15, v50, v23
	v_sub_f32_e32 v63, v70, v73
	v_sub_f32_e32 v70, v72, v71
	v_add_f32_e32 v71, v61, v52
	v_sub_f32_e32 v72, v50, v23
	v_sub_f32_e32 v23, v23, v13
	;; [unrolled: 1-line block ×3, first 2 shown]
	v_add_f32_e32 v13, v13, v15
	v_add_f32_e32 v15, v69, v71
	;; [unrolled: 1-line block ×3, first 2 shown]
	v_sub_f32_e32 v73, v61, v52
	v_sub_f32_e32 v52, v52, v69
	;; [unrolled: 1-line block ×3, first 2 shown]
	v_add_f32_e32 v74, v70, v63
	v_sub_f32_e32 v91, v70, v63
	v_sub_f32_e32 v63, v63, v57
	v_add_f32_e32 v3, v3, v15
	v_mov_b32_e32 v108, v42
	v_add_f32_e32 v90, v4, v6
	v_sub_f32_e32 v107, v4, v6
	v_sub_f32_e32 v70, v57, v70
	;; [unrolled: 1-line block ×3, first 2 shown]
	v_add_f32_e32 v57, v74, v57
	v_mul_f32_e32 v23, 0x3f4a47b2, v23
	v_mul_f32_e32 v52, 0x3f4a47b2, v52
	;; [unrolled: 1-line block ×6, first 2 shown]
	v_fmac_f32_e32 v108, 0xbf955555, v13
	v_mov_b32_e32 v13, v3
	v_sub_f32_e32 v4, v17, v4
	v_add_f32_e32 v17, v90, v17
	v_mul_f32_e32 v90, 0x3f08b237, v107
	v_mul_f32_e32 v107, 0xbf5ff5aa, v6
	v_fmac_f32_e32 v13, 0xbf955555, v15
	v_fma_f32 v15, v72, s2, -v69
	v_fma_f32 v69, v73, s2, -v71
	;; [unrolled: 1-line block ×3, first 2 shown]
	v_fmac_f32_e32 v23, 0x3d64c772, v50
	v_fma_f32 v50, v73, s1, -v52
	v_fmac_f32_e32 v52, 0x3d64c772, v61
	v_fma_f32 v61, v63, s0, -v74
	v_fma_f32 v63, v70, s3, -v91
	;; [unrolled: 1-line block ×3, first 2 shown]
	v_fmac_f32_e32 v90, 0xbeae86e6, v4
	v_fma_f32 v4, v4, s3, -v107
	v_add_f32_e32 v52, v52, v13
	v_add_f32_e32 v69, v69, v13
	;; [unrolled: 1-line block ×3, first 2 shown]
	v_fmac_f32_e32 v63, 0xbee1c552, v57
	s_waitcnt lgkmcnt(0)
	; wave barrier
	ds_write2_b32 v95, v49, v30 offset1:56
	ds_write2_b32 v95, v51, v84 offset0:112 offset1:168
	v_add_u32_e32 v84, 0x200, v95
	v_fmac_f32_e32 v74, 0xbeae86e6, v70
	v_add_f32_e32 v23, v23, v108
	v_add_f32_e32 v70, v71, v108
	v_fmac_f32_e32 v90, 0xbee1c552, v17
	v_fmac_f32_e32 v4, 0xbee1c552, v17
	v_sub_f32_e32 v72, v13, v63
	v_add_f32_e32 v107, v63, v13
	ds_write2_b32 v84, v5, v7 offset0:96 offset1:152
	ds_write2_b32 v40, v34, v48 offset0:80 offset1:136
	ds_write_b32 v0, v28
	v_add_u32_e32 v63, 0x600, v95
	v_add_u32_e32 v5, 0xc00, v1
	v_lshl_add_u32 v28, v45, 2, 0
	v_add_f32_e32 v15, v15, v108
	v_fmac_f32_e32 v74, 0xbee1c552, v57
	v_fmac_f32_e32 v61, 0xbee1c552, v57
	;; [unrolled: 1-line block ×3, first 2 shown]
	v_add_f32_e32 v17, v90, v23
	v_add_f32_e32 v57, v4, v70
	ds_write2_b32 v63, v54, v86 offset0:120 offset1:176
	ds_write2_b32 v2, v24, v26 offset0:104 offset1:160
	ds_write_b32 v95, v31 offset:2912
	ds_write2_b32 v5, v46, v18 offset0:16 offset1:72
	ds_write2_b32 v5, v53, v76 offset0:128 offset1:184
	v_add_u32_e32 v7, 0xe00, v1
	v_add_u32_e32 v48, 0x1000, v28
	;; [unrolled: 1-line block ×4, first 2 shown]
	v_sub_f32_e32 v71, v15, v6
	v_add_f32_e32 v6, v6, v15
	v_sub_f32_e32 v4, v70, v4
	v_sub_f32_e32 v13, v23, v90
	ds_write2_b32 v7, v22, v20 offset0:112 offset1:168
	ds_write_b32 v1, v35 offset:4480
	ds_write2_b32 v48, v43, v16 offset0:152 offset1:208
	ds_write2_b32 v76, v21, v67 offset0:8 offset1:64
	;; [unrolled: 1-line block ×3, first 2 shown]
	ds_write_b32 v28, v19 offset:6048
	ds_write2_b32 v86, v42, v17 offset0:32 offset1:88
	ds_write2_b32 v86, v57, v71 offset0:144 offset1:200
	v_add_u32_e32 v90, 0x1c00, v44
	v_add_u32_e32 v24, 0xa00, v95
	;; [unrolled: 1-line block ×4, first 2 shown]
	v_sub_f32_e32 v50, v52, v74
	v_add_f32_e32 v73, v61, v69
	v_sub_f32_e32 v91, v69, v61
	v_add_f32_e32 v74, v74, v52
	ds_write2_b32 v90, v6, v4 offset1:56
	ds_write_b32 v44, v13 offset:7616
	s_waitcnt lgkmcnt(0)
	; wave barrier
	s_waitcnt lgkmcnt(0)
	ds_read2st64_b32 v[12:13], v95 offset1:7
	ds_read2_b32 v[16:17], v24 offset0:88 offset1:144
	ds_read2_b32 v[14:15], v36 offset0:152 offset1:208
	;; [unrolled: 1-line block ×9, first 2 shown]
	ds_read_b32 v70, v97
	ds_read_b32 v71, v100
	;; [unrolled: 1-line block ×4, first 2 shown]
	ds_read2_b32 v[53:54], v2 offset0:104 offset1:160
	ds_read2_b32 v[51:52], v37 offset0:120 offset1:176
	ds_read_b32 v49, v104
	ds_read2_b32 v[36:37], v36 offset0:40 offset1:96
	ds_read2_b32 v[38:39], v39 offset0:56 offset1:112
	ds_read_b32 v69, v106
	ds_read_b32 v41, v105
	s_waitcnt lgkmcnt(0)
	; wave barrier
	s_waitcnt lgkmcnt(0)
	ds_write2_b32 v95, v80, v77 offset1:56
	ds_write2_b32 v95, v83, v85 offset0:112 offset1:168
	ds_write2_b32 v84, v78, v32 offset0:96 offset1:152
	;; [unrolled: 1-line block ×3, first 2 shown]
	ds_write_b32 v0, v33
	ds_write2_b32 v63, v82, v87 offset0:120 offset1:176
	ds_write2_b32 v2, v79, v81 offset0:104 offset1:160
	ds_write_b32 v95, v56 offset:2912
	ds_write2_b32 v5, v60, v29 offset0:16 offset1:72
	ds_write2_b32 v5, v62, v88 offset0:128 offset1:184
	ds_write2_b32 v7, v27, v25 offset0:112 offset1:168
	ds_write_b32 v1, v58 offset:4480
	ds_write2_b32 v48, v47, v59 offset0:152 offset1:208
	;; [unrolled: 4-line block ×3, first 2 shown]
	ds_write2_b32 v86, v72, v73 offset0:144 offset1:200
	ds_write2_b32 v90, v91, v107 offset1:56
	ds_write_b32 v44, v74 offset:7616
	s_waitcnt lgkmcnt(0)
	; wave barrier
	s_waitcnt lgkmcnt(0)
	s_and_saveexec_b64 s[0:1], vcc
	s_cbranch_execz .LBB0_29
; %bb.28:
	v_lshlrev_b32_e32 v32, 2, v101
	v_mov_b32_e32 v33, 0
	v_lshlrev_b64 v[0:1], 3, v[32:33]
	v_mov_b32_e32 v72, s13
	v_add_co_u32_e32 v27, vcc, s12, v0
	v_addc_co_u32_e32 v28, vcc, v72, v1, vcc
	global_load_dwordx4 v[4:7], v[27:28], off offset:3104
	global_load_dwordx4 v[0:3], v[27:28], off offset:3120
	v_add_u32_e32 v29, 0x1c00, v95
	v_lshlrev_b32_e32 v28, 2, v99
	ds_read2_b32 v[24:25], v24 offset0:88 offset1:144
	v_add_u32_e32 v73, 0x1000, v95
	ds_read2_b32 v[26:27], v26 offset0:104 offset1:160
	ds_read_b32 v50, v104
	ds_read_b32 v74, v106
	;; [unrolled: 1-line block ×4, first 2 shown]
	ds_read2_b32 v[58:59], v73 offset0:40 offset1:96
	ds_read2_b32 v[64:65], v29 offset0:56 offset1:112
	v_mov_b32_e32 v29, v33
	v_lshlrev_b64 v[28:29], 3, v[28:29]
	v_mul_lo_u32 v47, s5, v10
	v_add_co_u32_e32 v28, vcc, s12, v28
	v_addc_co_u32_e32 v29, vcc, v72, v29, vcc
	global_load_dwordx4 v[75:78], v[28:29], off offset:3120
	global_load_dwordx4 v[79:82], v[28:29], off offset:3104
	v_mul_lo_u32 v48, s4, v11
	v_mad_u64_u32 v[10:11], s[0:1], s4, v10, 0
	v_lshlrev_b32_e32 v40, 2, v98
	v_lshlrev_b32_e32 v56, 2, v96
	v_add3_u32 v11, v11, v48, v47
	v_lshlrev_b32_e32 v44, 2, v93
	v_lshlrev_b32_e32 v55, 2, v94
	;; [unrolled: 1-line block ×3, first 2 shown]
	s_mov_b32 s0, 0x5397829d
	v_lshlrev_b64 v[10:11], 3, v[10:11]
	v_lshlrev_b64 v[8:9], 3, v[8:9]
	s_movk_i32 s1, 0x7a8
	s_waitcnt vmcnt(3)
	v_mul_f32_e32 v28, v16, v5
	v_mul_f32_e32 v29, v37, v7
	s_waitcnt vmcnt(2)
	v_mul_f32_e32 v47, v39, v3
	s_waitcnt lgkmcnt(1)
	v_mul_f32_e32 v83, v59, v7
	v_mul_f32_e32 v84, v26, v1
	;; [unrolled: 1-line block ×4, first 2 shown]
	s_waitcnt lgkmcnt(0)
	v_mul_f32_e32 v68, v65, v3
	v_fma_f32 v24, v4, v24, -v28
	v_fma_f32 v28, v6, v59, -v29
	;; [unrolled: 1-line block ×3, first 2 shown]
	v_fmac_f32_e32 v83, v37, v6
	v_fmac_f32_e32 v84, v18, v0
	v_fma_f32 v26, v0, v26, -v48
	v_fmac_f32_e32 v66, v16, v4
	v_fmac_f32_e32 v68, v39, v2
	v_sub_f32_e32 v0, v24, v28
	v_add_f32_e32 v5, v83, v84
	v_sub_f32_e32 v37, v24, v29
	v_sub_f32_e32 v47, v28, v24
	v_add_f32_e32 v59, v24, v29
	v_add_f32_e32 v24, v24, v60
	v_sub_f32_e32 v1, v29, v26
	v_sub_f32_e32 v3, v66, v83
	;; [unrolled: 1-line block ×3, first 2 shown]
	v_add_f32_e32 v86, v66, v68
	v_fma_f32 v6, -0.5, v5, v41
	v_add_f32_e32 v24, v28, v24
	v_add_f32_e32 v2, v28, v26
	;; [unrolled: 1-line block ×4, first 2 shown]
	v_fma_f32 v4, -0.5, v86, v41
	v_mov_b32_e32 v0, v6
	v_add_f32_e32 v24, v26, v24
	v_sub_f32_e32 v39, v28, v26
	v_sub_f32_e32 v48, v26, v29
	v_fma_f32 v7, -0.5, v2, v60
	v_mov_b32_e32 v2, v4
	v_fmac_f32_e32 v0, 0x3f737871, v37
	v_add_f32_e32 v29, v29, v24
	v_add_f32_e32 v24, v41, v66
	v_fmac_f32_e32 v6, 0xbf737871, v37
	v_mov_b32_e32 v41, v33
	v_fma_f32 v5, -0.5, v59, v60
	v_fmac_f32_e32 v0, 0x3f167918, v39
	v_fmac_f32_e32 v2, 0xbf737871, v39
	;; [unrolled: 1-line block ×4, first 2 shown]
	v_lshlrev_b64 v[39:40], 3, v[40:41]
	v_sub_f32_e32 v16, v66, v68
	v_sub_f32_e32 v18, v83, v84
	v_mov_b32_e32 v1, v7
	v_mov_b32_e32 v3, v5
	v_fmac_f32_e32 v1, 0xbf737871, v16
	v_fmac_f32_e32 v3, 0x3f737871, v18
	;; [unrolled: 1-line block ×4, first 2 shown]
	v_add_co_u32_e32 v39, vcc, s12, v39
	v_sub_f32_e32 v65, v83, v66
	v_sub_f32_e32 v85, v84, v68
	v_fmac_f32_e32 v1, 0xbf167918, v18
	v_fmac_f32_e32 v3, 0xbf167918, v16
	;; [unrolled: 1-line block ×3, first 2 shown]
	v_add_f32_e32 v24, v24, v83
	v_fmac_f32_e32 v7, 0x3f167918, v18
	v_add_u32_e32 v16, 0x800, v95
	v_addc_co_u32_e32 v40, vcc, v72, v40, vcc
	v_add_f32_e32 v47, v47, v48
	v_add_f32_e32 v48, v65, v85
	v_fmac_f32_e32 v1, 0x3e9e377a, v87
	v_fmac_f32_e32 v0, 0x3e9e377a, v88
	v_add_f32_e32 v24, v24, v84
	v_fmac_f32_e32 v7, 0x3e9e377a, v87
	v_fmac_f32_e32 v6, 0x3e9e377a, v88
	ds_read2_b32 v[59:60], v16 offset0:104 offset1:160
	global_load_dwordx4 v[83:86], v[39:40], off offset:3120
	global_load_dwordx4 v[87:90], v[39:40], off offset:3104
	v_add_f32_e32 v28, v68, v24
	v_add_u32_e32 v24, 0x1400, v95
	ds_read2_b32 v[65:66], v24 offset0:120 offset1:176
	v_fmac_f32_e32 v2, 0x3f167918, v37
	v_fmac_f32_e32 v4, 0xbf167918, v37
	s_waitcnt vmcnt(2)
	v_mul_f32_e32 v16, v54, v80
	v_mul_f32_e32 v37, v38, v78
	s_waitcnt lgkmcnt(1)
	v_fma_f32 v16, v79, v60, -v16
	v_mul_f32_e32 v18, v36, v82
	v_fma_f32 v68, v77, v64, -v37
	v_mul_f32_e32 v37, v52, v76
	v_mul_f32_e32 v60, v60, v80
	v_fma_f32 v18, v81, v58, -v18
	s_waitcnt lgkmcnt(0)
	v_fma_f32 v91, v75, v66, -v37
	v_fmac_f32_e32 v60, v54, v79
	v_mul_f32_e32 v54, v64, v78
	v_mul_f32_e32 v58, v58, v82
	v_mul_f32_e32 v66, v66, v76
	v_fmac_f32_e32 v54, v38, v77
	v_fmac_f32_e32 v58, v36, v81
	;; [unrolled: 1-line block ×3, first 2 shown]
	v_sub_f32_e32 v36, v60, v58
	v_sub_f32_e32 v38, v54, v66
	v_add_f32_e32 v75, v36, v38
	v_sub_f32_e32 v38, v18, v16
	v_sub_f32_e32 v39, v91, v68
	;; [unrolled: 1-line block ×4, first 2 shown]
	v_add_f32_e32 v78, v38, v39
	v_add_f32_e32 v38, v16, v68
	;; [unrolled: 1-line block ×3, first 2 shown]
	v_fmac_f32_e32 v3, 0x3e9e377a, v47
	v_fmac_f32_e32 v2, 0x3e9e377a, v48
	;; [unrolled: 1-line block ×4, first 2 shown]
	v_sub_f32_e32 v37, v68, v91
	v_fma_f32 v48, -0.5, v38, v50
	v_sub_f32_e32 v38, v58, v60
	v_sub_f32_e32 v47, v66, v54
	v_add_f32_e32 v16, v18, v16
	v_add_f32_e32 v26, v26, v37
	;; [unrolled: 1-line block ×7, first 2 shown]
	ds_read2_b32 v[98:99], v57 offset0:72 offset1:128
	v_mov_b32_e32 v57, v33
	v_fma_f32 v41, -0.5, v37, v50
	v_fma_f32 v40, -0.5, v36, v49
	;; [unrolled: 1-line block ×3, first 2 shown]
	v_add_f32_e32 v50, v68, v16
	v_add_f32_e32 v16, v49, v60
	v_lshlrev_b64 v[56:57], 3, v[56:57]
	v_sub_f32_e32 v52, v58, v66
	v_mov_b32_e32 v36, v40
	v_sub_f32_e32 v77, v18, v91
	v_mov_b32_e32 v39, v48
	v_mov_b32_e32 v38, v47
	v_add_f32_e32 v16, v16, v58
	v_sub_f32_e32 v64, v60, v54
	v_fmac_f32_e32 v36, 0x3f737871, v76
	v_fmac_f32_e32 v39, 0x3f737871, v52
	;; [unrolled: 1-line block ×4, first 2 shown]
	v_add_f32_e32 v16, v16, v66
	v_fmac_f32_e32 v48, 0xbf737871, v52
	v_fmac_f32_e32 v47, 0x3f737871, v77
	v_add_co_u32_e32 v56, vcc, s12, v56
	v_fmac_f32_e32 v36, 0x3f167918, v77
	v_fmac_f32_e32 v39, 0xbf167918, v64
	;; [unrolled: 1-line block ×4, first 2 shown]
	v_add_f32_e32 v49, v54, v16
	v_fmac_f32_e32 v48, 0x3f167918, v64
	v_fmac_f32_e32 v47, 0xbf167918, v76
	v_add_u32_e32 v16, 0xc00, v95
	v_addc_co_u32_e32 v57, vcc, v72, v57, vcc
	v_fmac_f32_e32 v36, 0x3e9e377a, v75
	v_fmac_f32_e32 v39, 0x3e9e377a, v78
	;; [unrolled: 1-line block ×6, first 2 shown]
	ds_read2_b32 v[93:94], v16 offset0:184 offset1:240
	global_load_dwordx4 v[75:78], v[56:57], off offset:3120
	global_load_dwordx4 v[79:82], v[56:57], off offset:3104
	v_mov_b32_e32 v37, v41
	v_fmac_f32_e32 v37, 0xbf737871, v64
	v_fmac_f32_e32 v41, 0x3f737871, v64
	s_waitcnt vmcnt(3)
	v_mul_f32_e32 v54, v43, v86
	s_waitcnt lgkmcnt(1)
	v_mul_f32_e32 v86, v99, v86
	v_fmac_f32_e32 v37, 0xbf167918, v52
	v_fmac_f32_e32 v41, 0x3f167918, v52
	v_fma_f32 v64, v85, v99, -v54
	v_fmac_f32_e32 v86, v43, v85
	s_waitcnt vmcnt(2) lgkmcnt(0)
	v_mul_f32_e32 v85, v94, v90
	v_fmac_f32_e32 v37, 0x3e9e377a, v26
	v_fmac_f32_e32 v41, 0x3e9e377a, v26
	v_mul_f32_e32 v18, v53, v88
	v_mul_f32_e32 v26, v46, v90
	;; [unrolled: 1-line block ×4, first 2 shown]
	v_fmac_f32_e32 v85, v46, v89
	v_mul_f32_e32 v46, v65, v84
	v_fma_f32 v18, v87, v59, -v18
	v_fma_f32 v26, v89, v94, -v26
	;; [unrolled: 1-line block ×3, first 2 shown]
	v_fmac_f32_e32 v88, v53, v87
	v_fmac_f32_e32 v46, v51, v83
	v_sub_f32_e32 v52, v18, v26
	v_sub_f32_e32 v54, v64, v56
	;; [unrolled: 1-line block ×4, first 2 shown]
	v_add_f32_e32 v66, v52, v54
	v_add_f32_e32 v83, v51, v53
	v_sub_f32_e32 v53, v26, v18
	v_sub_f32_e32 v54, v56, v64
	;; [unrolled: 1-line block ×3, first 2 shown]
	v_add_f32_e32 v89, v53, v54
	v_add_f32_e32 v53, v18, v64
	v_add_f32_e32 v18, v18, v62
	v_fma_f32 v60, -0.5, v53, v62
	v_sub_f32_e32 v53, v85, v88
	v_sub_f32_e32 v59, v46, v86
	v_add_f32_e32 v18, v26, v18
	v_add_f32_e32 v52, v26, v56
	;; [unrolled: 1-line block ×3, first 2 shown]
	v_sub_f32_e32 v87, v26, v56
	v_add_f32_e32 v90, v53, v59
	v_add_f32_e32 v53, v88, v86
	;; [unrolled: 1-line block ×3, first 2 shown]
	v_mov_b32_e32 v56, v33
	v_fma_f32 v57, -0.5, v51, v61
	v_fma_f32 v59, -0.5, v53, v61
	v_lshlrev_b64 v[55:56], 3, v[55:56]
	v_fma_f32 v58, -0.5, v52, v62
	v_sub_f32_e32 v65, v85, v46
	v_mov_b32_e32 v51, v57
	v_mov_b32_e32 v54, v60
	;; [unrolled: 1-line block ×3, first 2 shown]
	v_add_f32_e32 v62, v64, v18
	v_add_f32_e32 v18, v61, v88
	v_sub_f32_e32 v43, v88, v86
	v_fmac_f32_e32 v51, 0x3f737871, v84
	v_fmac_f32_e32 v54, 0x3f737871, v65
	;; [unrolled: 1-line block ×6, first 2 shown]
	v_add_f32_e32 v18, v18, v85
	v_add_co_u32_e32 v55, vcc, s12, v55
	v_fmac_f32_e32 v51, 0x3f167918, v87
	v_fmac_f32_e32 v54, 0xbf167918, v43
	;; [unrolled: 1-line block ×6, first 2 shown]
	v_add_f32_e32 v18, v18, v46
	v_addc_co_u32_e32 v56, vcc, v72, v56, vcc
	ds_read_b32 v68, v102
	v_fmac_f32_e32 v51, 0x3e9e377a, v83
	v_fmac_f32_e32 v54, 0x3e9e377a, v89
	;; [unrolled: 1-line block ×6, first 2 shown]
	v_add_f32_e32 v61, v86, v18
	global_load_dwordx4 v[83:86], v[55:56], off offset:3120
	global_load_dwordx4 v[87:90], v[55:56], off offset:3104
	ds_read2_b32 v[103:104], v24 offset0:8 offset1:64
	ds_read2_b32 v[101:102], v63 offset0:120 offset1:176
	v_mov_b32_e32 v52, v58
	s_waitcnt vmcnt(2)
	v_mul_f32_e32 v18, v45, v82
	v_mul_f32_e32 v82, v93, v82
	v_fmac_f32_e32 v52, 0xbf737871, v43
	v_fmac_f32_e32 v58, 0x3f737871, v43
	v_mul_f32_e32 v43, v31, v76
	v_fmac_f32_e32 v82, v45, v81
	s_waitcnt lgkmcnt(1)
	v_mul_f32_e32 v45, v104, v76
	v_fma_f32 v46, v75, v104, -v43
	v_fmac_f32_e32 v45, v31, v75
	s_waitcnt lgkmcnt(0)
	v_mul_f32_e32 v75, v102, v80
	v_mul_f32_e32 v24, v35, v80
	;; [unrolled: 1-line block ×3, first 2 shown]
	v_fmac_f32_e32 v75, v35, v79
	v_mul_f32_e32 v35, v98, v78
	v_fma_f32 v18, v81, v93, -v18
	v_fma_f32 v24, v79, v102, -v24
	;; [unrolled: 1-line block ×3, first 2 shown]
	v_fmac_f32_e32 v35, v42, v77
	v_sub_f32_e32 v26, v18, v24
	v_sub_f32_e32 v43, v46, v91
	;; [unrolled: 1-line block ×4, first 2 shown]
	v_add_f32_e32 v26, v26, v43
	v_add_f32_e32 v43, v24, v91
	;; [unrolled: 1-line block ×4, first 2 shown]
	v_fma_f32 v64, -0.5, v43, v68
	v_fma_f32 v63, -0.5, v42, v67
	v_sub_f32_e32 v31, v82, v45
	v_mov_b32_e32 v43, v64
	v_sub_f32_e32 v78, v18, v46
	v_mov_b32_e32 v42, v63
	v_fmac_f32_e32 v43, 0x3f737871, v31
	v_sub_f32_e32 v76, v75, v35
	v_sub_f32_e32 v77, v24, v91
	v_fmac_f32_e32 v42, 0xbf737871, v78
	v_fmac_f32_e32 v64, 0xbf737871, v31
	;; [unrolled: 1-line block ×11, first 2 shown]
	v_sub_f32_e32 v26, v24, v18
	v_sub_f32_e32 v55, v91, v46
	v_add_f32_e32 v24, v24, v68
	v_add_f32_e32 v26, v26, v55
	;; [unrolled: 1-line block ×5, first 2 shown]
	v_fma_f32 v56, -0.5, v55, v68
	v_add_f32_e32 v68, v91, v18
	v_add_f32_e32 v18, v67, v75
	v_fmac_f32_e32 v52, 0xbf167918, v65
	v_fmac_f32_e32 v58, 0x3f167918, v65
	v_sub_f32_e32 v55, v75, v82
	v_sub_f32_e32 v65, v35, v45
	v_add_f32_e32 v18, v82, v18
	v_add_f32_e32 v79, v55, v65
	;; [unrolled: 1-line block ×4, first 2 shown]
	v_fma_f32 v55, -0.5, v55, v67
	v_add_f32_e32 v67, v18, v35
	ds_read2_b32 v[93:94], v16 offset0:72 offset1:128
	v_mov_b32_e32 v45, v33
	v_lshlrev_b64 v[44:45], 3, v[44:45]
	v_fmac_f32_e32 v52, 0x3e9e377a, v66
	v_fmac_f32_e32 v58, 0x3e9e377a, v66
	v_mov_b32_e32 v66, v56
	v_mov_b32_e32 v65, v55
	v_fmac_f32_e32 v66, 0x3f737871, v76
	v_fmac_f32_e32 v65, 0xbf737871, v77
	;; [unrolled: 1-line block ×3, first 2 shown]
	s_waitcnt vmcnt(0)
	v_mul_f32_e32 v18, v34, v88
	v_fma_f32 v16, v87, v101, -v18
	v_add_u32_e32 v18, 0x1800, v95
	ds_read2_b32 v[98:99], v18 offset0:88 offset1:144
	v_fmac_f32_e32 v55, 0x3f737871, v77
	v_add_co_u32_e32 v44, vcc, s12, v44
	v_fmac_f32_e32 v66, 0x3f167918, v31
	v_fmac_f32_e32 v65, 0xbf167918, v78
	;; [unrolled: 1-line block ×4, first 2 shown]
	v_addc_co_u32_e32 v45, vcc, v72, v45, vcc
	ds_read_b32 v96, v100
	v_fmac_f32_e32 v66, 0x3e9e377a, v26
	v_fmac_f32_e32 v65, 0x3e9e377a, v79
	;; [unrolled: 1-line block ×4, first 2 shown]
	v_mul_f32_e32 v26, v23, v86
	global_load_dwordx4 v[75:78], v[44:45], off offset:3120
	global_load_dwordx4 v[79:82], v[44:45], off offset:3104
	v_mul_f32_e32 v88, v101, v88
	s_waitcnt lgkmcnt(1)
	v_mul_f32_e32 v101, v99, v86
	v_mul_f32_e32 v86, v94, v90
	;; [unrolled: 1-line block ×4, first 2 shown]
	v_fmac_f32_e32 v86, v21, v89
	v_mul_f32_e32 v21, v103, v84
	v_fma_f32 v18, v89, v94, -v18
	v_fma_f32 v26, v85, v99, -v26
	;; [unrolled: 1-line block ×3, first 2 shown]
	v_fmac_f32_e32 v88, v34, v87
	v_fmac_f32_e32 v101, v23, v85
	;; [unrolled: 1-line block ×3, first 2 shown]
	v_sub_f32_e32 v24, v16, v18
	v_sub_f32_e32 v31, v26, v46
	v_sub_f32_e32 v23, v88, v86
	v_sub_f32_e32 v30, v101, v21
	v_add_f32_e32 v91, v24, v31
	v_add_f32_e32 v84, v23, v30
	v_sub_f32_e32 v30, v18, v16
	v_sub_f32_e32 v31, v46, v26
	v_add_f32_e32 v90, v30, v31
	v_add_f32_e32 v30, v16, v26
	;; [unrolled: 1-line block ×3, first 2 shown]
	s_waitcnt lgkmcnt(0)
	v_fma_f32 v45, -0.5, v30, v96
	v_sub_f32_e32 v30, v86, v88
	v_sub_f32_e32 v44, v21, v101
	v_add_f32_e32 v24, v18, v46
	v_fma_f32 v34, -0.5, v23, v71
	v_sub_f32_e32 v87, v16, v26
	v_add_f32_e32 v94, v30, v44
	v_add_f32_e32 v30, v88, v101
	;; [unrolled: 1-line block ×3, first 2 shown]
	v_lshlrev_b64 v[32:33], 3, v[32:33]
	v_fma_f32 v35, -0.5, v24, v96
	v_sub_f32_e32 v83, v86, v21
	v_mov_b32_e32 v23, v34
	v_mov_b32_e32 v31, v45
	v_fma_f32 v44, -0.5, v30, v71
	v_add_f32_e32 v16, v18, v16
	v_sub_f32_e32 v85, v88, v101
	v_mov_b32_e32 v24, v35
	v_fmac_f32_e32 v23, 0x3f737871, v87
	v_sub_f32_e32 v89, v18, v46
	v_fmac_f32_e32 v31, 0x3f737871, v83
	v_mov_b32_e32 v30, v44
	v_fmac_f32_e32 v45, 0xbf737871, v83
	v_fmac_f32_e32 v34, 0xbf737871, v87
	v_add_f32_e32 v16, v46, v16
	v_add_co_u32_e32 v32, vcc, s12, v32
	v_fmac_f32_e32 v24, 0xbf737871, v85
	v_fmac_f32_e32 v23, 0x3f167918, v89
	v_fmac_f32_e32 v31, 0xbf167918, v85
	v_fmac_f32_e32 v30, 0xbf737871, v89
	v_fmac_f32_e32 v45, 0x3f167918, v85
	v_fmac_f32_e32 v44, 0x3f737871, v89
	v_fmac_f32_e32 v35, 0x3f737871, v85
	v_fmac_f32_e32 v34, 0xbf167918, v89
	v_add_f32_e32 v96, v26, v16
	v_add_f32_e32 v16, v71, v88
	v_addc_co_u32_e32 v33, vcc, v72, v33, vcc
	ds_read_b32 v97, v97
	v_fmac_f32_e32 v24, 0xbf167918, v83
	v_fmac_f32_e32 v23, 0x3e9e377a, v84
	;; [unrolled: 1-line block ×8, first 2 shown]
	v_add_f32_e32 v16, v16, v86
	ds_read2st64_b32 v[99:100], v95 offset1:7
	global_load_dwordx4 v[83:86], v[32:33], off offset:3120
	global_load_dwordx4 v[87:90], v[32:33], off offset:3104
	ds_read2_b32 v[32:33], v73 offset0:152 offset1:208
	v_add_f32_e32 v16, v16, v21
	v_add_f32_e32 v95, v101, v16
	s_waitcnt vmcnt(3)
	v_mul_f32_e32 v21, v22, v78
	s_waitcnt vmcnt(2)
	v_mul_f32_e32 v16, v13, v80
	s_waitcnt lgkmcnt(1)
	v_fma_f32 v18, v79, v100, -v16
	v_mul_f32_e32 v16, v20, v82
	v_fma_f32 v46, v77, v98, -v21
	v_mul_f32_e32 v21, v15, v76
	v_fma_f32 v26, v81, v93, -v16
	s_waitcnt lgkmcnt(0)
	v_fma_f32 v73, v75, v33, -v21
	v_mul_f32_e32 v80, v100, v80
	v_sub_f32_e32 v16, v18, v26
	v_sub_f32_e32 v21, v46, v73
	v_fmac_f32_e32 v80, v13, v79
	v_mul_f32_e32 v13, v98, v78
	v_fmac_f32_e32 v24, 0x3e9e377a, v91
	v_fmac_f32_e32 v35, 0x3e9e377a, v91
	v_add_f32_e32 v91, v16, v21
	v_add_f32_e32 v16, v26, v73
	v_fmac_f32_e32 v13, v22, v77
	v_mul_f32_e32 v77, v93, v82
	v_sub_f32_e32 v71, v26, v18
	v_sub_f32_e32 v72, v73, v46
	v_fma_f32 v16, -0.5, v16, v97
	v_fmac_f32_e32 v77, v20, v81
	v_mul_f32_e32 v33, v33, v76
	v_sub_f32_e32 v81, v18, v46
	v_add_f32_e32 v93, v71, v72
	v_add_f32_e32 v71, v18, v46
	;; [unrolled: 1-line block ×3, first 2 shown]
	v_sub_f32_e32 v22, v80, v13
	v_mov_b32_e32 v21, v16
	v_fmac_f32_e32 v33, v15, v75
	v_fma_f32 v72, -0.5, v71, v97
	v_add_f32_e32 v18, v26, v18
	v_fmac_f32_e32 v21, 0xbf737871, v22
	v_sub_f32_e32 v78, v77, v33
	v_mov_b32_e32 v76, v72
	v_fmac_f32_e32 v16, 0x3f737871, v22
	v_add_f32_e32 v18, v73, v18
	v_fmac_f32_e32 v21, 0xbf167918, v78
	v_fmac_f32_e32 v76, 0x3f737871, v78
	;; [unrolled: 1-line block ×4, first 2 shown]
	v_add_f32_e32 v78, v46, v18
	v_add_f32_e32 v18, v70, v80
	v_sub_f32_e32 v15, v80, v77
	v_sub_f32_e32 v20, v13, v33
	v_add_f32_e32 v18, v18, v77
	v_add_f32_e32 v79, v15, v20
	;; [unrolled: 1-line block ×3, first 2 shown]
	v_sub_f32_e32 v71, v77, v80
	v_sub_f32_e32 v75, v33, v13
	v_add_f32_e32 v18, v18, v33
	v_fmac_f32_e32 v30, 0x3e9e377a, v94
	v_fmac_f32_e32 v44, 0x3e9e377a, v94
	v_fma_f32 v15, -0.5, v15, v70
	v_add_f32_e32 v94, v71, v75
	v_add_f32_e32 v71, v80, v13
	v_add_f32_e32 v77, v13, v18
	v_mov_b32_e32 v20, v15
	v_fmac_f32_e32 v76, 0xbf167918, v22
	v_fma_f32 v71, -0.5, v71, v70
	v_fmac_f32_e32 v72, 0x3f167918, v22
	v_fmac_f32_e32 v20, 0x3f737871, v81
	v_sub_f32_e32 v82, v26, v73
	v_fmac_f32_e32 v15, 0xbf737871, v81
	v_fmac_f32_e32 v20, 0x3f167918, v82
	;; [unrolled: 1-line block ×5, first 2 shown]
	v_mov_b32_e32 v75, v71
	v_fmac_f32_e32 v75, 0xbf737871, v82
	v_fmac_f32_e32 v71, 0x3f737871, v82
	;; [unrolled: 1-line block ×5, first 2 shown]
	s_waitcnt vmcnt(1)
	v_mul_f32_e32 v18, v19, v86
	s_waitcnt vmcnt(0)
	v_mul_f32_e32 v13, v69, v88
	v_fma_f32 v22, v87, v74, -v13
	v_mul_f32_e32 v13, v17, v90
	v_fma_f32 v70, v85, v27, -v18
	;; [unrolled: 2-line block ×3, first 2 shown]
	v_fma_f32 v73, v83, v32, -v18
	v_mul_f32_e32 v74, v74, v88
	v_sub_f32_e32 v13, v22, v46
	v_sub_f32_e32 v18, v70, v73
	v_fmac_f32_e32 v74, v69, v87
	v_mul_f32_e32 v27, v27, v86
	v_mul_f32_e32 v69, v25, v90
	;; [unrolled: 1-line block ×3, first 2 shown]
	v_add_f32_e32 v79, v13, v18
	v_add_f32_e32 v13, v46, v73
	v_fmac_f32_e32 v27, v19, v85
	v_fmac_f32_e32 v69, v17, v89
	;; [unrolled: 1-line block ×3, first 2 shown]
	v_fma_f32 v18, -0.5, v13, v99
	v_sub_f32_e32 v13, v74, v69
	v_sub_f32_e32 v14, v27, v80
	v_add_f32_e32 v82, v13, v14
	v_add_f32_e32 v13, v69, v80
	v_fma_f32 v17, -0.5, v13, v12
	v_sub_f32_e32 v13, v46, v22
	v_sub_f32_e32 v14, v73, v70
	;; [unrolled: 1-line block ×3, first 2 shown]
	v_add_f32_e32 v85, v13, v14
	v_add_f32_e32 v13, v22, v70
	;; [unrolled: 1-line block ×4, first 2 shown]
	v_fma_f32 v14, -0.5, v13, v99
	v_sub_f32_e32 v13, v69, v74
	v_sub_f32_e32 v32, v80, v27
	v_add_f32_e32 v22, v73, v22
	v_add_f32_e32 v86, v13, v32
	;; [unrolled: 1-line block ×4, first 2 shown]
	v_mul_hi_u32 v22, v92, s0
	v_fma_f32 v13, -0.5, v13, v12
	v_add_f32_e32 v12, v12, v74
	v_add_f32_e32 v12, v12, v69
	;; [unrolled: 1-line block ×3, first 2 shown]
	v_sub_f32_e32 v81, v69, v80
	v_add_f32_e32 v69, v27, v12
	v_lshrrev_b32_e32 v12, 7, v22
	v_mul_u32_u24_e32 v12, 0x188, v12
	v_sub_u32_e32 v22, v92, v12
	v_sub_f32_e32 v19, v74, v27
	v_sub_f32_e32 v84, v46, v73
	v_mad_u64_u32 v[73:74], s[2:3], s20, v22, 0
	v_mov_b32_e32 v26, v18
	v_fmac_f32_e32 v26, 0xbf737871, v19
	v_fmac_f32_e32 v18, 0x3f737871, v19
	;; [unrolled: 1-line block ×4, first 2 shown]
	v_mov_b32_e32 v12, v74
	v_fmac_f32_e32 v26, 0x3e9e377a, v79
	v_fmac_f32_e32 v18, 0x3e9e377a, v79
	v_mad_u64_u32 v[79:80], s[2:3], s21, v22, v[12:13]
	v_mov_b32_e32 v33, v14
	v_fmac_f32_e32 v33, 0xbf737871, v81
	v_fmac_f32_e32 v14, 0x3f737871, v81
	v_fmac_f32_e32 v33, 0x3f167918, v19
	v_fmac_f32_e32 v14, 0xbf167918, v19
	v_mov_b32_e32 v12, s11
	v_add_co_u32_e32 v19, vcc, s10, v10
	v_mov_b32_e32 v74, v79
	v_addc_co_u32_e32 v12, vcc, v12, v11, vcc
	v_add_co_u32_e32 v8, vcc, v19, v8
	v_lshlrev_b64 v[73:74], 3, v[73:74]
	v_addc_co_u32_e32 v9, vcc, v12, v9, vcc
	v_add_u32_e32 v27, 0x188, v22
	v_add_co_u32_e32 v73, vcc, v8, v73
	v_mad_u64_u32 v[10:11], s[2:3], s20, v27, 0
	v_addc_co_u32_e32 v74, vcc, v9, v74, vcc
	v_add_u32_e32 v19, 0x310, v22
	global_store_dwordx2 v[73:74], v[69:70], off
	v_mad_u64_u32 v[69:70], s[2:3], s20, v19, 0
	v_mov_b32_e32 v32, v13
	v_fmac_f32_e32 v13, 0xbf737871, v84
	v_fmac_f32_e32 v13, 0x3f167918, v83
	v_mad_u64_u32 v[11:12], s[2:3], s21, v27, v[11:12]
	v_fmac_f32_e32 v13, 0x3e9e377a, v86
	v_mov_b32_e32 v12, v70
	v_mad_u64_u32 v[73:74], s[2:3], s21, v19, v[12:13]
	v_add_u32_e32 v19, 0x498, v22
	v_mad_u64_u32 v[79:80], s[2:3], s20, v19, 0
	v_lshlrev_b64 v[10:11], 3, v[10:11]
	v_mov_b32_e32 v25, v17
	v_fmac_f32_e32 v17, 0xbf737871, v83
	v_fmac_f32_e32 v17, 0xbf167918, v84
	v_add_co_u32_e32 v10, vcc, v8, v10
	v_fmac_f32_e32 v17, 0x3e9e377a, v82
	v_addc_co_u32_e32 v11, vcc, v9, v11, vcc
	v_mov_b32_e32 v12, v80
	global_store_dwordx2 v[10:11], v[17:18], off
	v_mad_u64_u32 v[17:18], s[2:3], s21, v19, v[12:13]
	v_add_u32_e32 v19, 0x620, v22
	v_mov_b32_e32 v70, v73
	v_mov_b32_e32 v80, v17
	v_mad_u64_u32 v[17:18], s[2:3], s20, v19, 0
	v_lshlrev_b64 v[10:11], 3, v[69:70]
	v_fmac_f32_e32 v32, 0x3f737871, v84
	v_fmac_f32_e32 v32, 0xbf167918, v83
	v_add_co_u32_e32 v10, vcc, v8, v10
	v_mov_b32_e32 v12, v18
	v_fmac_f32_e32 v33, 0x3e9e377a, v85
	v_fmac_f32_e32 v32, 0x3e9e377a, v86
	v_addc_co_u32_e32 v11, vcc, v9, v11, vcc
	v_mad_u64_u32 v[18:19], s[2:3], s21, v19, v[12:13]
	v_add_u32_e32 v12, 56, v92
	global_store_dwordx2 v[10:11], v[32:33], off
	v_lshlrev_b64 v[10:11], 3, v[79:80]
	v_mul_hi_u32 v19, v12, s0
	v_add_co_u32_e32 v10, vcc, v8, v10
	v_fmac_f32_e32 v14, 0x3e9e377a, v85
	v_addc_co_u32_e32 v11, vcc, v9, v11, vcc
	global_store_dwordx2 v[10:11], v[13:14], off
	v_lshrrev_b32_e32 v13, 7, v19
	v_mul_u32_u24_e32 v14, 0x188, v13
	v_sub_u32_e32 v12, v12, v14
	v_mad_u32_u24 v19, v13, s1, v12
	v_mad_u64_u32 v[12:13], s[2:3], s20, v19, 0
	v_lshlrev_b64 v[10:11], 3, v[17:18]
	v_fmac_f32_e32 v25, 0x3f737871, v83
	v_mad_u64_u32 v[13:14], s[2:3], s21, v19, v[13:14]
	v_add_u32_e32 v14, 0x188, v19
	v_mad_u64_u32 v[17:18], s[2:3], s20, v14, 0
	v_fmac_f32_e32 v25, 0x3f167918, v84
	v_add_co_u32_e32 v10, vcc, v8, v10
	v_fmac_f32_e32 v25, 0x3e9e377a, v82
	v_addc_co_u32_e32 v11, vcc, v9, v11, vcc
	global_store_dwordx2 v[10:11], v[25:26], off
	v_lshlrev_b64 v[10:11], 3, v[12:13]
	v_mov_b32_e32 v12, v18
	v_mad_u64_u32 v[12:13], s[2:3], s21, v14, v[12:13]
	v_add_u32_e32 v14, 0x310, v19
	v_add_co_u32_e32 v10, vcc, v8, v10
	v_mov_b32_e32 v18, v12
	v_mad_u64_u32 v[12:13], s[2:3], s20, v14, 0
	v_addc_co_u32_e32 v11, vcc, v9, v11, vcc
	v_mad_u64_u32 v[13:14], s[2:3], s21, v14, v[13:14]
	v_add_u32_e32 v14, 0x498, v19
	global_store_dwordx2 v[10:11], v[77:78], off
	v_lshlrev_b64 v[10:11], 3, v[17:18]
	v_mad_u64_u32 v[17:18], s[2:3], s20, v14, 0
	v_add_co_u32_e32 v10, vcc, v8, v10
	v_addc_co_u32_e32 v11, vcc, v9, v11, vcc
	global_store_dwordx2 v[10:11], v[15:16], off
	v_lshlrev_b64 v[10:11], 3, v[12:13]
	v_mov_b32_e32 v12, v18
	v_mad_u64_u32 v[12:13], s[2:3], s21, v14, v[12:13]
	v_add_u32_e32 v14, 0x620, v19
	v_add_co_u32_e32 v10, vcc, v8, v10
	v_mov_b32_e32 v18, v12
	v_mad_u64_u32 v[12:13], s[2:3], s20, v14, 0
	v_fmac_f32_e32 v72, 0x3e9e377a, v93
	v_fmac_f32_e32 v71, 0x3e9e377a, v94
	v_mad_u64_u32 v[13:14], s[2:3], s21, v14, v[13:14]
	v_addc_co_u32_e32 v11, vcc, v9, v11, vcc
	v_add_u32_e32 v14, 0x70, v92
	global_store_dwordx2 v[10:11], v[71:72], off
	v_lshlrev_b64 v[10:11], 3, v[17:18]
	v_mul_hi_u32 v15, v14, s0
	v_add_co_u32_e32 v10, vcc, v8, v10
	v_fmac_f32_e32 v76, 0x3e9e377a, v93
	v_fmac_f32_e32 v75, 0x3e9e377a, v94
	v_addc_co_u32_e32 v11, vcc, v9, v11, vcc
	global_store_dwordx2 v[10:11], v[75:76], off
	v_lshlrev_b64 v[10:11], 3, v[12:13]
	v_lshrrev_b32_e32 v12, 7, v15
	v_mul_u32_u24_e32 v13, 0x188, v12
	v_sub_u32_e32 v13, v14, v13
	v_mad_u32_u24 v16, v12, s1, v13
	v_mad_u64_u32 v[12:13], s[2:3], s20, v16, 0
	v_add_u32_e32 v17, 0x188, v16
	v_add_co_u32_e32 v10, vcc, v8, v10
	v_mad_u64_u32 v[13:14], s[2:3], s21, v16, v[13:14]
	v_mad_u64_u32 v[14:15], s[2:3], s20, v17, 0
	v_fmac_f32_e32 v21, 0x3e9e377a, v91
	v_addc_co_u32_e32 v11, vcc, v9, v11, vcc
	global_store_dwordx2 v[10:11], v[20:21], off
	v_lshlrev_b64 v[10:11], 3, v[12:13]
	v_mov_b32_e32 v12, v15
	v_mad_u64_u32 v[12:13], s[2:3], s21, v17, v[12:13]
	v_add_co_u32_e32 v10, vcc, v8, v10
	v_addc_co_u32_e32 v11, vcc, v9, v11, vcc
	v_mov_b32_e32 v15, v12
	global_store_dwordx2 v[10:11], v[95:96], off
	v_lshlrev_b64 v[10:11], 3, v[14:15]
	v_add_u32_e32 v14, 0x310, v16
	v_mad_u64_u32 v[12:13], s[2:3], s20, v14, 0
	v_add_u32_e32 v17, 0x498, v16
	v_add_co_u32_e32 v10, vcc, v8, v10
	v_mad_u64_u32 v[13:14], s[2:3], s21, v14, v[13:14]
	v_mad_u64_u32 v[14:15], s[2:3], s20, v17, 0
	v_addc_co_u32_e32 v11, vcc, v9, v11, vcc
	global_store_dwordx2 v[10:11], v[34:35], off
	v_lshlrev_b64 v[10:11], 3, v[12:13]
	v_mov_b32_e32 v12, v15
	v_mad_u64_u32 v[12:13], s[2:3], s21, v17, v[12:13]
	v_add_co_u32_e32 v10, vcc, v8, v10
	v_addc_co_u32_e32 v11, vcc, v9, v11, vcc
	v_mov_b32_e32 v15, v12
	global_store_dwordx2 v[10:11], v[44:45], off
	v_lshlrev_b64 v[10:11], 3, v[14:15]
	v_add_u32_e32 v14, 0x620, v16
	v_mad_u64_u32 v[12:13], s[2:3], s20, v14, 0
	v_add_co_u32_e32 v10, vcc, v8, v10
	v_mad_u64_u32 v[13:14], s[2:3], s21, v14, v[13:14]
	v_add_u32_e32 v14, 0xa8, v92
	v_mul_hi_u32 v15, v14, s0
	v_addc_co_u32_e32 v11, vcc, v9, v11, vcc
	global_store_dwordx2 v[10:11], v[30:31], off
	v_lshlrev_b64 v[10:11], 3, v[12:13]
	v_lshrrev_b32_e32 v12, 7, v15
	v_mul_u32_u24_e32 v13, 0x188, v12
	v_sub_u32_e32 v13, v14, v13
	v_mad_u32_u24 v16, v12, s1, v13
	v_mad_u64_u32 v[12:13], s[2:3], s20, v16, 0
	v_add_u32_e32 v17, 0x188, v16
	v_add_co_u32_e32 v10, vcc, v8, v10
	v_mad_u64_u32 v[13:14], s[2:3], s21, v16, v[13:14]
	v_mad_u64_u32 v[14:15], s[2:3], s20, v17, 0
	v_addc_co_u32_e32 v11, vcc, v9, v11, vcc
	global_store_dwordx2 v[10:11], v[23:24], off
	v_lshlrev_b64 v[10:11], 3, v[12:13]
	v_mov_b32_e32 v12, v15
	v_mad_u64_u32 v[12:13], s[2:3], s21, v17, v[12:13]
	v_add_co_u32_e32 v10, vcc, v8, v10
	v_addc_co_u32_e32 v11, vcc, v9, v11, vcc
	v_mov_b32_e32 v15, v12
	global_store_dwordx2 v[10:11], v[67:68], off
	v_lshlrev_b64 v[10:11], 3, v[14:15]
	v_add_u32_e32 v14, 0x310, v16
	v_mad_u64_u32 v[12:13], s[2:3], s20, v14, 0
	v_add_u32_e32 v17, 0x498, v16
	v_add_co_u32_e32 v10, vcc, v8, v10
	v_mad_u64_u32 v[13:14], s[2:3], s21, v14, v[13:14]
	v_mad_u64_u32 v[14:15], s[2:3], s20, v17, 0
	v_addc_co_u32_e32 v11, vcc, v9, v11, vcc
	global_store_dwordx2 v[10:11], v[65:66], off
	v_lshlrev_b64 v[10:11], 3, v[12:13]
	v_mov_b32_e32 v12, v15
	v_mad_u64_u32 v[12:13], s[2:3], s21, v17, v[12:13]
	v_add_co_u32_e32 v10, vcc, v8, v10
	v_addc_co_u32_e32 v11, vcc, v9, v11, vcc
	v_mov_b32_e32 v15, v12
	global_store_dwordx2 v[10:11], v[63:64], off
	v_lshlrev_b64 v[10:11], 3, v[14:15]
	v_add_u32_e32 v14, 0x620, v16
	v_mad_u64_u32 v[12:13], s[2:3], s20, v14, 0
	v_add_co_u32_e32 v10, vcc, v8, v10
	v_mad_u64_u32 v[13:14], s[2:3], s21, v14, v[13:14]
	v_add_u32_e32 v14, 0xe0, v92
	v_mul_hi_u32 v15, v14, s0
	v_addc_co_u32_e32 v11, vcc, v9, v11, vcc
	global_store_dwordx2 v[10:11], v[42:43], off
	v_lshlrev_b64 v[10:11], 3, v[12:13]
	v_lshrrev_b32_e32 v12, 7, v15
	v_mul_u32_u24_e32 v13, 0x188, v12
	v_sub_u32_e32 v13, v14, v13
	v_mad_u32_u24 v16, v12, s1, v13
	v_mad_u64_u32 v[12:13], s[2:3], s20, v16, 0
	v_add_u32_e32 v17, 0x188, v16
	v_add_co_u32_e32 v10, vcc, v8, v10
	v_mad_u64_u32 v[13:14], s[2:3], s21, v16, v[13:14]
	v_mad_u64_u32 v[14:15], s[2:3], s20, v17, 0
	;; [unrolled: 44-line block ×3, first 2 shown]
	v_addc_co_u32_e32 v11, vcc, v9, v11, vcc
	global_store_dwordx2 v[10:11], v[51:52], off
	v_lshlrev_b64 v[10:11], 3, v[12:13]
	v_mov_b32_e32 v12, v15
	v_mad_u64_u32 v[12:13], s[2:3], s21, v17, v[12:13]
	v_add_co_u32_e32 v10, vcc, v8, v10
	v_addc_co_u32_e32 v11, vcc, v9, v11, vcc
	v_mov_b32_e32 v15, v12
	global_store_dwordx2 v[10:11], v[49:50], off
	v_lshlrev_b64 v[10:11], 3, v[14:15]
	v_add_u32_e32 v14, 0x310, v16
	v_mad_u64_u32 v[12:13], s[2:3], s20, v14, 0
	v_add_u32_e32 v17, 0x498, v16
	v_add_co_u32_e32 v10, vcc, v8, v10
	v_mad_u64_u32 v[13:14], s[2:3], s21, v14, v[13:14]
	v_mad_u64_u32 v[14:15], s[2:3], s20, v17, 0
	v_addc_co_u32_e32 v11, vcc, v9, v11, vcc
	global_store_dwordx2 v[10:11], v[40:41], off
	v_lshlrev_b64 v[10:11], 3, v[12:13]
	v_mov_b32_e32 v12, v15
	v_mad_u64_u32 v[12:13], s[2:3], s21, v17, v[12:13]
	v_add_co_u32_e32 v10, vcc, v8, v10
	v_addc_co_u32_e32 v11, vcc, v9, v11, vcc
	v_mov_b32_e32 v15, v12
	global_store_dwordx2 v[10:11], v[47:48], off
	v_lshlrev_b64 v[10:11], 3, v[14:15]
	v_add_u32_e32 v14, 0x620, v16
	v_mad_u64_u32 v[12:13], s[2:3], s20, v14, 0
	v_add_u32_e32 v15, 0x150, v92
	v_mul_hi_u32 v16, v15, s0
	v_mad_u64_u32 v[13:14], s[2:3], s21, v14, v[13:14]
	v_add_co_u32_e32 v10, vcc, v8, v10
	v_lshrrev_b32_e32 v14, 7, v16
	v_mul_u32_u24_e32 v16, 0x188, v14
	v_sub_u32_e32 v15, v15, v16
	v_mad_u32_u24 v16, v14, s1, v15
	v_mad_u64_u32 v[14:15], s[0:1], s20, v16, 0
	v_addc_co_u32_e32 v11, vcc, v9, v11, vcc
	global_store_dwordx2 v[10:11], v[38:39], off
	v_lshlrev_b64 v[10:11], 3, v[12:13]
	v_mov_b32_e32 v12, v15
	v_mad_u64_u32 v[12:13], s[0:1], s21, v16, v[12:13]
	v_add_co_u32_e32 v10, vcc, v8, v10
	v_addc_co_u32_e32 v11, vcc, v9, v11, vcc
	v_mov_b32_e32 v15, v12
	global_store_dwordx2 v[10:11], v[36:37], off
	v_lshlrev_b64 v[10:11], 3, v[14:15]
	v_add_u32_e32 v14, 0x188, v16
	v_mad_u64_u32 v[12:13], s[0:1], s20, v14, 0
	v_add_u32_e32 v17, 0x310, v16
	v_add_co_u32_e32 v10, vcc, v8, v10
	v_mad_u64_u32 v[13:14], s[0:1], s21, v14, v[13:14]
	v_mad_u64_u32 v[14:15], s[0:1], s20, v17, 0
	v_addc_co_u32_e32 v11, vcc, v9, v11, vcc
	global_store_dwordx2 v[10:11], v[28:29], off
	v_lshlrev_b64 v[10:11], 3, v[12:13]
	v_mov_b32_e32 v12, v15
	v_mad_u64_u32 v[12:13], s[0:1], s21, v17, v[12:13]
	v_add_co_u32_e32 v10, vcc, v8, v10
	v_addc_co_u32_e32 v11, vcc, v9, v11, vcc
	v_mov_b32_e32 v15, v12
	v_add_u32_e32 v12, 0x498, v16
	global_store_dwordx2 v[10:11], v[6:7], off
	v_mad_u64_u32 v[10:11], s[0:1], s20, v12, 0
	v_lshlrev_b64 v[6:7], 3, v[14:15]
	v_add_u32_e32 v14, 0x620, v16
	v_mad_u64_u32 v[11:12], s[0:1], s21, v12, v[11:12]
	v_mad_u64_u32 v[12:13], s[0:1], s20, v14, 0
	v_add_co_u32_e32 v6, vcc, v8, v6
	v_addc_co_u32_e32 v7, vcc, v9, v7, vcc
	global_store_dwordx2 v[6:7], v[4:5], off
	v_mov_b32_e32 v6, v13
	v_mad_u64_u32 v[6:7], s[0:1], s21, v14, v[6:7]
	v_lshlrev_b64 v[4:5], 3, v[10:11]
	v_add_co_u32_e32 v4, vcc, v8, v4
	v_addc_co_u32_e32 v5, vcc, v9, v5, vcc
	v_mov_b32_e32 v13, v6
	global_store_dwordx2 v[4:5], v[2:3], off
	v_lshlrev_b64 v[2:3], 3, v[12:13]
	v_add_co_u32_e32 v2, vcc, v8, v2
	v_addc_co_u32_e32 v3, vcc, v9, v3, vcc
	global_store_dwordx2 v[2:3], v[0:1], off
.LBB0_29:
	s_endpgm
	.section	.rodata,"a",@progbits
	.p2align	6, 0x0
	.amdhsa_kernel fft_rtc_back_len1960_factors_4_7_2_7_5_wgs_56_tpt_56_halfLds_sp_op_CI_CI_sbrr_dirReg
		.amdhsa_group_segment_fixed_size 0
		.amdhsa_private_segment_fixed_size 0
		.amdhsa_kernarg_size 104
		.amdhsa_user_sgpr_count 6
		.amdhsa_user_sgpr_private_segment_buffer 1
		.amdhsa_user_sgpr_dispatch_ptr 0
		.amdhsa_user_sgpr_queue_ptr 0
		.amdhsa_user_sgpr_kernarg_segment_ptr 1
		.amdhsa_user_sgpr_dispatch_id 0
		.amdhsa_user_sgpr_flat_scratch_init 0
		.amdhsa_user_sgpr_private_segment_size 0
		.amdhsa_uses_dynamic_stack 0
		.amdhsa_system_sgpr_private_segment_wavefront_offset 0
		.amdhsa_system_sgpr_workgroup_id_x 1
		.amdhsa_system_sgpr_workgroup_id_y 0
		.amdhsa_system_sgpr_workgroup_id_z 0
		.amdhsa_system_sgpr_workgroup_info 0
		.amdhsa_system_vgpr_workitem_id 0
		.amdhsa_next_free_vgpr 184
		.amdhsa_next_free_sgpr 32
		.amdhsa_reserve_vcc 1
		.amdhsa_reserve_flat_scratch 0
		.amdhsa_float_round_mode_32 0
		.amdhsa_float_round_mode_16_64 0
		.amdhsa_float_denorm_mode_32 3
		.amdhsa_float_denorm_mode_16_64 3
		.amdhsa_dx10_clamp 1
		.amdhsa_ieee_mode 1
		.amdhsa_fp16_overflow 0
		.amdhsa_exception_fp_ieee_invalid_op 0
		.amdhsa_exception_fp_denorm_src 0
		.amdhsa_exception_fp_ieee_div_zero 0
		.amdhsa_exception_fp_ieee_overflow 0
		.amdhsa_exception_fp_ieee_underflow 0
		.amdhsa_exception_fp_ieee_inexact 0
		.amdhsa_exception_int_div_zero 0
	.end_amdhsa_kernel
	.text
.Lfunc_end0:
	.size	fft_rtc_back_len1960_factors_4_7_2_7_5_wgs_56_tpt_56_halfLds_sp_op_CI_CI_sbrr_dirReg, .Lfunc_end0-fft_rtc_back_len1960_factors_4_7_2_7_5_wgs_56_tpt_56_halfLds_sp_op_CI_CI_sbrr_dirReg
                                        ; -- End function
	.section	.AMDGPU.csdata,"",@progbits
; Kernel info:
; codeLenInByte = 21444
; NumSgprs: 36
; NumVgprs: 184
; ScratchSize: 0
; MemoryBound: 0
; FloatMode: 240
; IeeeMode: 1
; LDSByteSize: 0 bytes/workgroup (compile time only)
; SGPRBlocks: 4
; VGPRBlocks: 45
; NumSGPRsForWavesPerEU: 36
; NumVGPRsForWavesPerEU: 184
; Occupancy: 1
; WaveLimiterHint : 1
; COMPUTE_PGM_RSRC2:SCRATCH_EN: 0
; COMPUTE_PGM_RSRC2:USER_SGPR: 6
; COMPUTE_PGM_RSRC2:TRAP_HANDLER: 0
; COMPUTE_PGM_RSRC2:TGID_X_EN: 1
; COMPUTE_PGM_RSRC2:TGID_Y_EN: 0
; COMPUTE_PGM_RSRC2:TGID_Z_EN: 0
; COMPUTE_PGM_RSRC2:TIDIG_COMP_CNT: 0
	.type	__hip_cuid_177728f14e3211d4,@object ; @__hip_cuid_177728f14e3211d4
	.section	.bss,"aw",@nobits
	.globl	__hip_cuid_177728f14e3211d4
__hip_cuid_177728f14e3211d4:
	.byte	0                               ; 0x0
	.size	__hip_cuid_177728f14e3211d4, 1

	.ident	"AMD clang version 19.0.0git (https://github.com/RadeonOpenCompute/llvm-project roc-6.4.0 25133 c7fe45cf4b819c5991fe208aaa96edf142730f1d)"
	.section	".note.GNU-stack","",@progbits
	.addrsig
	.addrsig_sym __hip_cuid_177728f14e3211d4
	.amdgpu_metadata
---
amdhsa.kernels:
  - .args:
      - .actual_access:  read_only
        .address_space:  global
        .offset:         0
        .size:           8
        .value_kind:     global_buffer
      - .offset:         8
        .size:           8
        .value_kind:     by_value
      - .actual_access:  read_only
        .address_space:  global
        .offset:         16
        .size:           8
        .value_kind:     global_buffer
      - .actual_access:  read_only
        .address_space:  global
        .offset:         24
        .size:           8
        .value_kind:     global_buffer
      - .actual_access:  read_only
        .address_space:  global
        .offset:         32
        .size:           8
        .value_kind:     global_buffer
      - .offset:         40
        .size:           8
        .value_kind:     by_value
      - .actual_access:  read_only
        .address_space:  global
        .offset:         48
        .size:           8
        .value_kind:     global_buffer
      - .actual_access:  read_only
        .address_space:  global
        .offset:         56
        .size:           8
        .value_kind:     global_buffer
      - .offset:         64
        .size:           4
        .value_kind:     by_value
      - .actual_access:  read_only
        .address_space:  global
        .offset:         72
        .size:           8
        .value_kind:     global_buffer
      - .actual_access:  read_only
        .address_space:  global
        .offset:         80
        .size:           8
        .value_kind:     global_buffer
      - .actual_access:  read_only
        .address_space:  global
        .offset:         88
        .size:           8
        .value_kind:     global_buffer
      - .actual_access:  write_only
        .address_space:  global
        .offset:         96
        .size:           8
        .value_kind:     global_buffer
    .group_segment_fixed_size: 0
    .kernarg_segment_align: 8
    .kernarg_segment_size: 104
    .language:       OpenCL C
    .language_version:
      - 2
      - 0
    .max_flat_workgroup_size: 56
    .name:           fft_rtc_back_len1960_factors_4_7_2_7_5_wgs_56_tpt_56_halfLds_sp_op_CI_CI_sbrr_dirReg
    .private_segment_fixed_size: 0
    .sgpr_count:     36
    .sgpr_spill_count: 0
    .symbol:         fft_rtc_back_len1960_factors_4_7_2_7_5_wgs_56_tpt_56_halfLds_sp_op_CI_CI_sbrr_dirReg.kd
    .uniform_work_group_size: 1
    .uses_dynamic_stack: false
    .vgpr_count:     184
    .vgpr_spill_count: 0
    .wavefront_size: 64
amdhsa.target:   amdgcn-amd-amdhsa--gfx906
amdhsa.version:
  - 1
  - 2
...

	.end_amdgpu_metadata
